;; amdgpu-corpus repo=ROCm/aiter kind=harvested arch=n/a opt=n/a

/root/src/amdgpu-assembly/repos/ROCm__aiter/hsa/gfx950/f4gemm/f4gemm_bf16_per1x32Fp4_BpreShuffle_160x384.co:	file format elf64-amdgpu

Disassembly of section .text:

0000000000002c00 <_ZN5aiter42f4gemm_bf16_per1x32Fp4_BpreShuffle_160x384E>:
	s_and_b32 s1, s1, 0xffff                                   // 000000002C00: 8601FF01 0000FFFF
	s_load_dwordx2 s[4:5], s[0:1], 0x0                         // 000000002C08: C0060100 00000000
	s_load_dwordx2 s[8:9], s[0:1], 0x10                        // 000000002C10: C0060200 00000010
	s_load_dwordx2 s[12:13], s[0:1], 0x20                      // 000000002C18: C0060300 00000020
	s_load_dwordx2 s[16:17], s[0:1], 0x30                      // 000000002C20: C0060400 00000030
	s_load_dword s41, s[0:1], 0x40                             // 000000002C28: C0020A40 00000040
	s_load_dword s42, s[0:1], 0x50                             // 000000002C30: C0020A80 00000050
	s_load_dword s36, s[0:1], 0x80                             // 000000002C38: C0020900 00000080
	s_load_dword s37, s[0:1], 0xa0                             // 000000002C40: C0020940 000000A0
	s_load_dword s38, s[0:1], 0xc0                             // 000000002C48: C0020980 000000C0
	s_load_dword s43, s[0:1], 0xe0                             // 000000002C50: C0020AC0 000000E0
	s_load_dword s44, s[0:1], 0xf0                             // 000000002C58: C0020B00 000000F0
	s_load_dword s45, s[0:1], 0x100                            // 000000002C60: C0020B40 00000100
	s_load_dwordx2 s[20:21], s[0:1], 0x110                     // 000000002C68: C0060500 00000110
	s_load_dwordx2 s[24:25], s[0:1], 0x120                     // 000000002C70: C0060600 00000120
	s_load_dword s39, s[0:1], 0x130                            // 000000002C78: C00209C0 00000130
	s_load_dword s40, s[0:1], 0x150                            // 000000002C80: C0020A00 00000150
	v_lshrrev_b32_e32 v1, 10, v0                               // 000000002C88: 2002008A
	v_lshrrev_b32_e32 v2, 10, v1                               // 000000002C8C: 2004028A
	v_and_b32_e32 v2, 0x3ff, v2                                // 000000002C90: 260404FF 000003FF
	v_and_b32_e32 v1, 0x3ff, v1                                // 000000002C98: 260202FF 000003FF
	v_and_b32_e32 v0, 0x3ff, v0                                // 000000002CA0: 260000FF 000003FF
	v_lshrrev_b32_e32 v3, 6, v0                                // 000000002CA8: 20060086
	v_and_b32_e32 v0, 63, v0                                   // 000000002CAC: 260000BF
	s_mov_b32 s47, s2                                          // 000000002CB0: BEAF0002
	s_mov_b32 s48, s3                                          // 000000002CB4: BEB00003
	v_readfirstlane_b32 s46, v3                                // 000000002CB8: 7E5C0503
	s_waitcnt lgkmcnt(0)                                       // 000000002CBC: BF8CC07F
	s_add_u32 s51, s44, 0x17f                                  // 000000002CC0: 8033FF2C 0000017F
	s_mov_b32 s63, 0x180                                       // 000000002CC8: BEBF00FF 00000180
	v_cvt_f32_u32_e32 v4, s63                                  // 000000002CD0: 7E080C3F
	s_sub_i32 s50, 0, s63                                      // 000000002CD4: 81B23F80
	v_rcp_iflag_f32_e32 v4, v4                                 // 000000002CD8: 7E084704
	s_nop 0                                                    // 000000002CDC: BF800000
	v_mul_f32_e32 v4, 0x4f7ffffe, v4                           // 000000002CE0: 0A0808FF 4F7FFFFE
	v_cvt_u32_f32_e32 v4, v4                                   // 000000002CE8: 7E080F04
	v_mul_lo_u32 v5, s50, v4                                   // 000000002CEC: D2850005 00020832
	v_mul_hi_u32 v5, v4, v5                                    // 000000002CF4: D2860005 00020B04
	v_add_u32_e32 v4, v4, v5                                   // 000000002CFC: 68080B04
	v_mul_hi_u32 v4, s51, v4                                   // 000000002D00: D2860004 00020833
	v_mul_lo_u32 v5, v4, s63                                   // 000000002D08: D2850005 00007F04
	v_sub_u32_e32 v7, s51, v5                                  // 000000002D10: 6A0E0A33
	v_add_u32_e32 v6, 1, v4                                    // 000000002D14: 680C0881
	v_cmp_le_u32_e32 vcc, s63, v7                              // 000000002D18: 7D960E3F
	v_subrev_u32_e32 v5, s63, v7                               // 000000002D1C: 6C0A0E3F
	s_nop 0                                                    // 000000002D20: BF800000
	v_cndmask_b32_e32 v4, v4, v6, vcc                          // 000000002D24: 00080D04
	v_cndmask_b32_e32 v7, v7, v5, vcc                          // 000000002D28: 000E0B07
	v_add_u32_e32 v5, 1, v4                                    // 000000002D2C: 680A0881
	v_cmp_le_u32_e32 vcc, s63, v7                              // 000000002D30: 7D960E3F
	s_nop 1                                                    // 000000002D34: BF800001
	v_cndmask_b32_e32 v7, v4, v5, vcc                          // 000000002D38: 000E0B04
	s_nop 3                                                    // 000000002D3C: BF800003
	v_readfirstlane_b32 s50, v7                                // 000000002D40: 7E640507
	s_nop 3                                                    // 000000002D44: BF800003
	s_mul_i32 s49, s50, s48                                    // 000000002D48: 92313032
	s_add_i32 s49, s49, s47                                    // 000000002D4C: 81312F31
	s_add_u32 s51, s43, 0x9f                                   // 000000002D50: 8033FF2B 0000009F
	s_mov_b32 s63, 0xa0                                        // 000000002D58: BEBF00FF 000000A0
	v_cvt_f32_u32_e32 v4, s63                                  // 000000002D60: 7E080C3F
	s_sub_i32 s62, 0, s63                                      // 000000002D64: 81BE3F80
	v_rcp_iflag_f32_e32 v4, v4                                 // 000000002D68: 7E084704
	s_nop 0                                                    // 000000002D6C: BF800000
	v_mul_f32_e32 v4, 0x4f7ffffe, v4                           // 000000002D70: 0A0808FF 4F7FFFFE
	v_cvt_u32_f32_e32 v4, v4                                   // 000000002D78: 7E080F04
	v_mul_lo_u32 v5, s62, v4                                   // 000000002D7C: D2850005 0002083E
	v_mul_hi_u32 v5, v4, v5                                    // 000000002D84: D2860005 00020B04
	v_add_u32_e32 v4, v4, v5                                   // 000000002D8C: 68080B04
	v_mul_hi_u32 v4, s51, v4                                   // 000000002D90: D2860004 00020833
	v_mul_lo_u32 v5, v4, s63                                   // 000000002D98: D2850005 00007F04
	v_sub_u32_e32 v7, s51, v5                                  // 000000002DA0: 6A0E0A33
	v_add_u32_e32 v6, 1, v4                                    // 000000002DA4: 680C0881
	v_cmp_le_u32_e32 vcc, s63, v7                              // 000000002DA8: 7D960E3F
	v_subrev_u32_e32 v5, s63, v7                               // 000000002DAC: 6C0A0E3F
	s_nop 0                                                    // 000000002DB0: BF800000
	v_cndmask_b32_e32 v4, v4, v6, vcc                          // 000000002DB4: 00080D04
	v_cndmask_b32_e32 v7, v7, v5, vcc                          // 000000002DB8: 000E0B07
	v_add_u32_e32 v5, 1, v4                                    // 000000002DBC: 680A0881
	v_cmp_le_u32_e32 vcc, s63, v7                              // 000000002DC0: 7D960E3F
	s_nop 1                                                    // 000000002DC4: BF800001
	v_cndmask_b32_e32 v7, v4, v5, vcc                          // 000000002DC8: 000E0B04
	s_nop 3                                                    // 000000002DCC: BF800003
	v_readfirstlane_b32 s62, v7                                // 000000002DD0: 7E7C0507
	s_nop 3                                                    // 000000002DD4: BF800003
	s_lshl_b32 s62, s62, 5                                     // 000000002DD8: 8E3E853E
	s_mov_b32 s47, 0                                           // 000000002DDC: BEAF0080

0000000000002de0 <label_0078>:
	s_cmp_lt_i32 s49, s62                                      // 000000002DE0: BF043E31
	s_cbranch_scc1 label_007D                                  // 000000002DE4: BF850003
	s_sub_i32 s49, s49, s62                                    // 000000002DE8: 81B13E31
	s_add_i32 s47, s47, 32                                     // 000000002DEC: 812FA02F
	s_branch label_0078                                        // 000000002DF0: BF82FFFB

0000000000002df4 <label_007D>:
	s_sub_i32 s50, s50, s47                                    // 000000002DF4: 81B22F32
	s_cmp_lt_i32 s50, 32                                       // 000000002DF8: BF04A032
	s_cbranch_scc1 label_0083                                  // 000000002DFC: BF850003
	s_lshr_b32 s48, s49, 5                                     // 000000002E00: 8F308531
	s_and_b32 s62, s49, 31                                     // 000000002E04: 863E9F31
	s_branch label_00A3                                        // 000000002E08: BF820020

0000000000002e0c <label_0083>:
	v_cvt_f32_u32_e32 v4, s50                                  // 000000002E0C: 7E080C32
	s_sub_i32 s48, 0, s50                                      // 000000002E10: 81B03280
	v_rcp_iflag_f32_e32 v4, v4                                 // 000000002E14: 7E084704
	s_nop 0                                                    // 000000002E18: BF800000
	v_mul_f32_e32 v4, 0x4f7ffffe, v4                           // 000000002E1C: 0A0808FF 4F7FFFFE
	v_cvt_u32_f32_e32 v4, v4                                   // 000000002E24: 7E080F04
	v_mul_lo_u32 v5, s48, v4                                   // 000000002E28: D2850005 00020830
	v_mul_hi_u32 v5, v4, v5                                    // 000000002E30: D2860005 00020B04
	v_add_u32_e32 v4, v4, v5                                   // 000000002E38: 68080B04
	v_mul_hi_u32 v4, s49, v4                                   // 000000002E3C: D2860004 00020831
	v_mul_lo_u32 v5, v4, s50                                   // 000000002E44: D2850005 00006504
	v_sub_u32_e32 v7, s49, v5                                  // 000000002E4C: 6A0E0A31
	v_add_u32_e32 v6, 1, v4                                    // 000000002E50: 680C0881
	v_cmp_le_u32_e32 vcc, s50, v7                              // 000000002E54: 7D960E32
	v_subrev_u32_e32 v5, s50, v7                               // 000000002E58: 6C0A0E32
	s_nop 0                                                    // 000000002E5C: BF800000
	v_cndmask_b32_e32 v4, v4, v6, vcc                          // 000000002E60: 00080D04
	v_cndmask_b32_e32 v7, v7, v5, vcc                          // 000000002E64: 000E0B07
	v_add_u32_e32 v5, 1, v4                                    // 000000002E68: 680A0881
	v_cmp_le_u32_e32 vcc, s50, v7                              // 000000002E6C: 7D960E32
	s_nop 1                                                    // 000000002E70: BF800001
	v_cndmask_b32_e32 v7, v4, v5, vcc                          // 000000002E74: 000E0B04
	s_nop 3                                                    // 000000002E78: BF800003
	v_readfirstlane_b32 s48, v7                                // 000000002E7C: 7E600507
	s_nop 3                                                    // 000000002E80: BF800003
	s_mul_i32 s62, s50, s48                                    // 000000002E84: 923E3032
	s_sub_i32 s62, s49, s62                                    // 000000002E88: 81BE3E31

0000000000002e8c <label_00A3>:
	s_add_i32 s47, s62, s47                                    // 000000002E8C: 812F2F3E
	s_lshr_b32 s37, s37, 1                                     // 000000002E90: 8F258125
	s_mul_i32 s62, s48, 0xa0                                   // 000000002E94: 923EFF30 000000A0
	s_mul_hi_u32 s63, s37, s62                                 // 000000002E9C: 963F3E25
	s_add_u32 s13, s13, s63                                    // 000000002EA0: 800D3F0D
	s_mul_i32 s63, s37, s62                                    // 000000002EA4: 923F3E25
	s_add_u32 s12, s12, s63                                    // 000000002EA8: 800C3F0C
	s_addc_u32 s13, s13, 0                                     // 000000002EAC: 820D800D
	s_sub_i32 s63, s43, s62                                    // 000000002EB0: 81BF3E2B
	s_cmp_lt_u32 s63, 0xa0                                     // 000000002EB4: BF0AFF3F 000000A0
	s_cselect_b32 s62, s63, 0xa0                               // 000000002EBC: 853EFF3F 000000A0
	s_mul_i32 s14, s37, s62                                    // 000000002EC4: 920E3E25
	s_mov_b32 s15, 0x20000                                     // 000000002EC8: BE8F00FF 00020000
	v_lshrrev_b32_e32 v4, 3, v0                                // 000000002ED0: 20080083
	v_lshrrev_b32_e32 v5, 2, v4                                // 000000002ED4: 200A0882
	v_lshlrev_b32_e32 v5, 4, v5                                // 000000002ED8: 240A0A84
	v_and_b32_e32 v4, 3, v4                                    // 000000002EDC: 26080883
	v_lshrrev_b32_e32 v6, 1, v4                                // 000000002EE0: 200C0881
	v_lshlrev_b32_e32 v6, 2, v6                                // 000000002EE4: 240C0C82
	v_add_u32_e32 v5, v5, v6                                   // 000000002EE8: 680A0D05
	v_and_b32_e32 v4, 1, v4                                    // 000000002EEC: 26080881
	v_add_u32_e32 v5, v5, v4                                   // 000000002EF0: 680A0905
	v_mul_lo_u32 v195, s37, v5                                 // 000000002EF4: D28500C3 00020A25
	v_and_b32_e32 v4, 7, v0                                    // 000000002EFC: 26080087
	v_lshlrev_b32_e32 v4, 4, v4                                // 000000002F00: 24080884
	v_add_u32_e32 v195, v4, v195                               // 000000002F04: 69878704
	s_lshr_b32 s62, s46, 1                                     // 000000002F08: 8F3E812E
	s_mul_i32 s62, s62, 8                                      // 000000002F0C: 923E883E
	s_and_b32 s63, s46, 1                                      // 000000002F10: 863F812E
	s_mul_i32 s63, s63, 2                                      // 000000002F14: 923F823F
	s_add_u32 s62, s62, s63                                    // 000000002F18: 803E3F3E
	s_mul_i32 s62, s37, s62                                    // 000000002F1C: 923E3E25
	v_add_u32_e32 v195, s62, v195                              // 000000002F20: 6987863E
	s_mul_i32 s62, s37, 32                                     // 000000002F24: 923EA025
	v_add_u32_e32 v196, s62, v195                              // 000000002F28: 6989863E
	v_add_u32_e32 v197, s62, v196                              // 000000002F2C: 698B883E
	v_add_u32_e32 v198, s62, v197                              // 000000002F30: 698D8A3E
	v_add_u32_e32 v199, s62, v198                              // 000000002F34: 698F8C3E
	s_mul_i32 s64, 0x420, s46                                  // 000000002F38: 92402EFF 00000420
	s_add_u32 s64, 0x1000, s64                                 // 000000002F40: 804040FF 00001000
	v_and_b32_e32 v4, 15, v0                                   // 000000002F48: 2608008F
	v_lshrrev_b32_e32 v5, 3, v4                                // 000000002F4C: 200A0883
	v_mul_i32_i24_e32 v5, 2, v5                                // 000000002F50: 0C0A0A82
	v_and_b32_e32 v4, 3, v0                                    // 000000002F54: 26080083
	v_lshrrev_b32_e32 v6, 1, v4                                // 000000002F58: 200C0881
	v_add_u32_e32 v4, v5, v6                                   // 000000002F5C: 68080D05
	v_mul_i32_i24_e32 v200, 0x420, v4                          // 000000002F60: 0D9008FF 00000420
	v_and_b32_e32 v4, 7, v0                                    // 000000002F68: 26080087
	v_lshrrev_b32_e32 v5, 2, v4                                // 000000002F6C: 200A0882
	v_mul_i32_i24_e32 v5, 0x100, v5                            // 000000002F70: 0C0A0AFF 00000100
	v_add_u32_e32 v200, v5, v200                               // 000000002F78: 69919105
	v_and_b32_e32 v4, 1, v0                                    // 000000002F7C: 26080081
	v_mul_i32_i24_e32 v6, 0x80, v4                             // 000000002F80: 0C0C08FF 00000080
	v_add_u32_e32 v200, v6, v200                               // 000000002F88: 69919106
	v_lshrrev_b32_e32 v4, 4, v0                                // 000000002F8C: 20080084
	v_mul_i32_i24_e32 v4, 16, v4                               // 000000002F90: 0C080890
	v_add_u32_e32 v200, v4, v200                               // 000000002F94: 69919104
	v_add_u32_e32 v200, 0x1000, v200                           // 000000002F98: 699190FF 00001000
	v_add_u32_e32 v201, 0x5280, v200                           // 000000002FA0: 699390FF 00005280
	s_mul_i32 s62, s48, 0xa0                                   // 000000002FA8: 923EFF30 000000A0
	s_mul_hi_u32 s63, s39, s62                                 // 000000002FB0: 963F3E27
	s_add_u32 s21, s21, s63                                    // 000000002FB4: 80153F15
	s_mul_i32 s63, s39, s62                                    // 000000002FB8: 923F3E27
	s_add_u32 s20, s20, s63                                    // 000000002FBC: 80143F14
	s_addc_u32 s21, s21, 0                                     // 000000002FC0: 82158015
	s_add_u32 s63, s43, 31                                     // 000000002FC4: 803F9F2B
	s_lshr_b32 s63, s63, 5                                     // 000000002FC8: 8F3F853F
	s_lshl_b32 s63, s63, 5                                     // 000000002FCC: 8E3F853F
	s_sub_i32 s63, s63, s62                                    // 000000002FD0: 81BF3E3F
	s_cmp_lt_u32 s63, 0xa0                                     // 000000002FD4: BF0AFF3F 000000A0
	s_cselect_b32 s62, s63, 0xa0                               // 000000002FDC: 853EFF3F 000000A0
	s_mul_i32 s22, s39, s62                                    // 000000002FE4: 92163E27
	s_mov_b32 s23, 0x20000                                     // 000000002FE8: BE9700FF 00020000
	v_lshlrev_b32_e32 v202, 2, v0                              // 000000002FF0: 25940082
	s_mul_i32 s63, s46, 32                                     // 000000002FF4: 923FA02E
	s_mul_i32 s63, s63, s39                                    // 000000002FF8: 923F273F
	v_add_u32_e32 v202, s63, v202                              // 000000002FFC: 6995943F
	s_mul_i32 s63, 0x80, s39                                   // 000000003000: 923F27FF 00000080
	v_add_u32_e32 v203, s63, v202                              // 000000003008: 6997943F
	s_mul_i32 s65, s46, 0x100                                  // 00000000300C: 9241FF2E 00000100
	s_add_i32 s65, s65, 0                                      // 000000003014: 81418041
	v_lshlrev_b32_e32 v204, 2, v0                              // 000000003018: 25980082
	v_add_u32_e32 v204, 0, v204                                // 00000000301C: 69999880
	s_lshr_b32 s38, s38, 1                                     // 000000003020: 8F268126
	s_mul_i32 s62, s47, 0x180                                  // 000000003024: 923EFF2F 00000180
	s_mul_hi_u32 s63, s38, s62                                 // 00000000302C: 963F3E26
	s_add_u32 s17, s17, s63                                    // 000000003030: 80113F11
	s_mul_i32 s63, s38, s62                                    // 000000003034: 923F3E26
	s_add_u32 s16, s16, s63                                    // 000000003038: 80103F10
	s_addc_u32 s17, s17, 0                                     // 00000000303C: 82118011
	s_sub_i32 s63, s44, s62                                    // 000000003040: 81BF3E2C
	s_cmp_lt_u32 s63, 0x180                                    // 000000003044: BF0AFF3F 00000180
	s_cselect_b32 s62, s63, 0x180                              // 00000000304C: 853EFF3F 00000180
	s_mul_i32 s18, s38, s62                                    // 000000003054: 92123E26
	s_mov_b32 s19, 0x20000                                     // 000000003058: BE9300FF 00020000
	v_lshlrev_b32_e32 v205, 4, v0                              // 000000003060: 259A0084
	s_mul_i32 s63, s46, 0x60                                   // 000000003064: 923FFF2E 00000060
	s_mul_i32 s62, s63, s38                                    // 00000000306C: 923E263F
	v_add_u32_e32 v205, s62, v205                              // 000000003070: 699B9A3E
	s_mul_i32 s62, 16, s38                                     // 000000003074: 923E2690
	v_add_u32_e32 v206, s62, v205                              // 000000003078: 699D9A3E
	v_add_u32_e32 v207, s62, v206                              // 00000000307C: 699F9C3E
	v_add_u32_e32 v208, s62, v207                              // 000000003080: 69A19E3E
	v_add_u32_e32 v209, s62, v208                              // 000000003084: 69A3A03E
	v_add_u32_e32 v210, s62, v209                              // 000000003088: 69A5A23E
	s_mul_i32 s62, s47, 0x180                                  // 00000000308C: 923EFF2F 00000180
	s_mul_hi_u32 s63, s40, s62                                 // 000000003094: 963F3E28
	s_add_u32 s25, s25, s63                                    // 000000003098: 80193F19
	s_mul_i32 s63, s40, s62                                    // 00000000309C: 923F3E28
	s_add_u32 s24, s24, s63                                    // 0000000030A0: 80183F18
	s_addc_u32 s25, s25, 0                                     // 0000000030A4: 82198019
	s_sub_i32 s63, s44, s62                                    // 0000000030A8: 81BF3E2C
	s_cmp_lt_u32 s63, 0x180                                    // 0000000030AC: BF0AFF3F 00000180
	s_cselect_b32 s62, s63, 0x180                              // 0000000030B4: 853EFF3F 00000180
	s_mul_i32 s26, s40, s62                                    // 0000000030BC: 921A3E28
	s_mov_b32 s27, 0x20000                                     // 0000000030C0: BE9B00FF 00020000
	v_lshlrev_b32_e32 v211, 2, v0                              // 0000000030C8: 25A60082
	s_mul_i32 s63, s46, 0x60                                   // 0000000030CC: 923FFF2E 00000060
	s_mul_i32 s63, s63, s40                                    // 0000000030D4: 923F283F
	v_add_u32_e32 v211, s63, v211                              // 0000000030D8: 69A7A63F
	s_mul_i32 s62, 32, s40                                     // 0000000030DC: 923E28A0
	v_add_u32_e32 v212, s62, v211                              // 0000000030E0: 69A9A63E
	v_add_u32_e32 v213, s62, v212                              // 0000000030E4: 69ABA83E
	s_mov_b32 s66, 0x80                                        // 0000000030E8: BEC200FF 00000080
	s_mov_b32 s67, 0x800                                       // 0000000030F0: BEC300FF 00000800
	s_mov_b32 s68, 0x100                                       // 0000000030F8: BEC400FF 00000100
	s_mov_b32 s69, 0x100                                       // 000000003100: BEC500FF 00000100
	s_mov_b32 s60, 0                                           // 000000003108: BEBC0080
	s_mov_b32 s61, s45                                         // 00000000310C: BEBD002D
	s_add_u32 m0, 0, s65                                       // 000000003110: 807C4180
	buffer_load_dword v202, s[20:23], 0 offen lds              // 000000003114: E0511000 800500CA
	v_accvgpr_write_b32 a0, 0                                  // 00000000311C: D3D94000 18000080
	v_accvgpr_write_b32 a1, 0                                  // 000000003124: D3D94001 18000080
	v_accvgpr_write_b32 a2, 0                                  // 00000000312C: D3D94002 18000080
	v_accvgpr_write_b32 a3, 0                                  // 000000003134: D3D94003 18000080
	v_accvgpr_write_b32 a4, 0                                  // 00000000313C: D3D94004 18000080
	v_accvgpr_write_b32 a5, 0                                  // 000000003144: D3D94005 18000080
	s_add_u32 m0, 0x400, s65                                   // 00000000314C: 807C41FF 00000400
	buffer_load_dword v203, s[20:23], 0 offen lds              // 000000003154: E0511000 800500CB
	v_accvgpr_write_b32 a6, 0                                  // 00000000315C: D3D94006 18000080
	v_accvgpr_write_b32 a7, 0                                  // 000000003164: D3D94007 18000080
	v_accvgpr_write_b32 a8, 0                                  // 00000000316C: D3D94008 18000080
	v_accvgpr_write_b32 a9, 0                                  // 000000003174: D3D94009 18000080
	v_accvgpr_write_b32 a10, 0                                 // 00000000317C: D3D9400A 18000080
	v_accvgpr_write_b32 a11, 0                                 // 000000003184: D3D9400B 18000080
	s_add_u32 m0, 0, s64                                       // 00000000318C: 807C4080
	buffer_load_dwordx4 v195, s[12:15], 0 offen lds            // 000000003190: E05D1000 800300C3
	v_accvgpr_write_b32 a12, 0                                 // 000000003198: D3D9400C 18000080
	v_accvgpr_write_b32 a13, 0                                 // 0000000031A0: D3D9400D 18000080
	v_accvgpr_write_b32 a14, 0                                 // 0000000031A8: D3D9400E 18000080
	v_accvgpr_write_b32 a15, 0                                 // 0000000031B0: D3D9400F 18000080
	v_accvgpr_write_b32 a16, 0                                 // 0000000031B8: D3D94010 18000080
	v_accvgpr_write_b32 a17, 0                                 // 0000000031C0: D3D94011 18000080
	s_add_u32 m0, 0x1080, s64                                  // 0000000031C8: 807C40FF 00001080
	buffer_load_dwordx4 v196, s[12:15], 0 offen lds            // 0000000031D0: E05D1000 800300C4
	v_accvgpr_write_b32 a18, 0                                 // 0000000031D8: D3D94012 18000080
	v_accvgpr_write_b32 a19, 0                                 // 0000000031E0: D3D94013 18000080
	v_accvgpr_write_b32 a20, 0                                 // 0000000031E8: D3D94014 18000080
	v_accvgpr_write_b32 a21, 0                                 // 0000000031F0: D3D94015 18000080
	v_accvgpr_write_b32 a22, 0                                 // 0000000031F8: D3D94016 18000080
	v_accvgpr_write_b32 a23, 0                                 // 000000003200: D3D94017 18000080
	buffer_load_dwordx4 v[88:91], v205, s[16:19], 0 offen      // 000000003208: E05C1000 800458CD
	v_accvgpr_write_b32 a24, 0                                 // 000000003210: D3D94018 18000080
	v_accvgpr_write_b32 a25, 0                                 // 000000003218: D3D94019 18000080
	v_accvgpr_write_b32 a26, 0                                 // 000000003220: D3D9401A 18000080
	v_accvgpr_write_b32 a27, 0                                 // 000000003228: D3D9401B 18000080
	v_accvgpr_write_b32 a28, 0                                 // 000000003230: D3D9401C 18000080
	v_accvgpr_write_b32 a29, 0                                 // 000000003238: D3D9401D 18000080
	buffer_load_dwordx4 v[92:95], v206, s[16:19], 0 offen      // 000000003240: E05C1000 80045CCE
	v_accvgpr_write_b32 a30, 0                                 // 000000003248: D3D9401E 18000080
	v_accvgpr_write_b32 a31, 0                                 // 000000003250: D3D9401F 18000080
	v_accvgpr_write_b32 a32, 0                                 // 000000003258: D3D94020 18000080
	v_accvgpr_write_b32 a33, 0                                 // 000000003260: D3D94021 18000080
	v_accvgpr_write_b32 a34, 0                                 // 000000003268: D3D94022 18000080
	v_accvgpr_write_b32 a35, 0                                 // 000000003270: D3D94023 18000080
	buffer_load_dwordx4 v[96:99], v205, s[16:19], 0 offen offset:1024// 000000003278: E05C1400 800460CD
	v_accvgpr_write_b32 a36, 0                                 // 000000003280: D3D94024 18000080
	v_accvgpr_write_b32 a37, 0                                 // 000000003288: D3D94025 18000080
	v_accvgpr_write_b32 a38, 0                                 // 000000003290: D3D94026 18000080
	v_accvgpr_write_b32 a39, 0                                 // 000000003298: D3D94027 18000080
	v_accvgpr_write_b32 a40, 0                                 // 0000000032A0: D3D94028 18000080
	v_accvgpr_write_b32 a41, 0                                 // 0000000032A8: D3D94029 18000080
	buffer_load_dwordx4 v[100:103], v206, s[16:19], 0 offen offset:1024// 0000000032B0: E05C1400 800464CE
	v_accvgpr_write_b32 a42, 0                                 // 0000000032B8: D3D9402A 18000080
	v_accvgpr_write_b32 a43, 0                                 // 0000000032C0: D3D9402B 18000080
	v_accvgpr_write_b32 a44, 0                                 // 0000000032C8: D3D9402C 18000080
	v_accvgpr_write_b32 a45, 0                                 // 0000000032D0: D3D9402D 18000080
	v_accvgpr_write_b32 a46, 0                                 // 0000000032D8: D3D9402E 18000080
	v_accvgpr_write_b32 a47, 0                                 // 0000000032E0: D3D9402F 18000080
	buffer_load_dword v189, v211, s[24:27], 0 offen            // 0000000032E8: E0501000 8006BDD3
	v_accvgpr_write_b32 a48, 0                                 // 0000000032F0: D3D94030 18000080
	v_accvgpr_write_b32 a49, 0                                 // 0000000032F8: D3D94031 18000080
	v_accvgpr_write_b32 a50, 0                                 // 000000003300: D3D94032 18000080
	v_accvgpr_write_b32 a51, 0                                 // 000000003308: D3D94033 18000080
	v_accvgpr_write_b32 a52, 0                                 // 000000003310: D3D94034 18000080
	v_accvgpr_write_b32 a53, 0                                 // 000000003318: D3D94035 18000080
	s_add_u32 m0, 0x2100, s64                                  // 000000003320: 807C40FF 00002100
	buffer_load_dwordx4 v197, s[12:15], 0 offen lds            // 000000003328: E05D1000 800300C5
	v_accvgpr_write_b32 a54, 0                                 // 000000003330: D3D94036 18000080
	v_accvgpr_write_b32 a55, 0                                 // 000000003338: D3D94037 18000080
	v_accvgpr_write_b32 a56, 0                                 // 000000003340: D3D94038 18000080
	v_accvgpr_write_b32 a57, 0                                 // 000000003348: D3D94039 18000080
	v_accvgpr_write_b32 a58, 0                                 // 000000003350: D3D9403A 18000080
	v_accvgpr_write_b32 a59, 0                                 // 000000003358: D3D9403B 18000080
	s_add_u32 m0, 0x3180, s64                                  // 000000003360: 807C40FF 00003180
	buffer_load_dwordx4 v198, s[12:15], 0 offen lds            // 000000003368: E05D1000 800300C6
	v_accvgpr_write_b32 a60, 0                                 // 000000003370: D3D9403C 18000080
	v_accvgpr_write_b32 a61, 0                                 // 000000003378: D3D9403D 18000080
	v_accvgpr_write_b32 a62, 0                                 // 000000003380: D3D9403E 18000080
	v_accvgpr_write_b32 a63, 0                                 // 000000003388: D3D9403F 18000080
	v_accvgpr_write_b32 a64, 0                                 // 000000003390: D3D94040 18000080
	v_accvgpr_write_b32 a65, 0                                 // 000000003398: D3D94041 18000080
	s_add_u32 m0, 0x4200, s64                                  // 0000000033A0: 807C40FF 00004200
	buffer_load_dwordx4 v199, s[12:15], 0 offen lds            // 0000000033A8: E05D1000 800300C7
	v_accvgpr_write_b32 a66, 0                                 // 0000000033B0: D3D94042 18000080
	v_accvgpr_write_b32 a67, 0                                 // 0000000033B8: D3D94043 18000080
	v_accvgpr_write_b32 a68, 0                                 // 0000000033C0: D3D94044 18000080
	v_accvgpr_write_b32 a69, 0                                 // 0000000033C8: D3D94045 18000080
	v_accvgpr_write_b32 a70, 0                                 // 0000000033D0: D3D94046 18000080
	v_accvgpr_write_b32 a71, 0                                 // 0000000033D8: D3D94047 18000080
	s_add_u32 s62, 0x100, s60                                  // 0000000033E0: 803E3CFF 00000100
	s_cmp_lt_u32 s62, s61                                      // 0000000033E8: BF0A3D3E
	s_cselect_b32 s66, s66, 0                                  // 0000000033EC: 85428042
	s_cselect_b32 s68, s68, 0                                  // 0000000033F0: 85448044
	s_add_u32 s12, s12, s66                                    // 0000000033F4: 800C420C
	s_addc_u32 s13, 0, s13                                     // 0000000033F8: 820D0D80
	s_sub_u32 s14, s14, s66                                    // 0000000033FC: 808E420E
	s_add_u32 s20, s20, s68                                    // 000000003400: 80144414
	s_addc_u32 s21, 0, s21                                     // 000000003404: 82151580
	s_sub_u32 s22, s22, s68                                    // 000000003408: 80964416
	buffer_load_dwordx4 v[104:107], v207, s[16:19], 0 offen    // 00000000340C: E05C1000 800468CF
	v_accvgpr_write_b32 a72, 0                                 // 000000003414: D3D94048 18000080
	v_accvgpr_write_b32 a73, 0                                 // 00000000341C: D3D94049 18000080
	v_accvgpr_write_b32 a74, 0                                 // 000000003424: D3D9404A 18000080
	v_accvgpr_write_b32 a75, 0                                 // 00000000342C: D3D9404B 18000080
	v_accvgpr_write_b32 a76, 0                                 // 000000003434: D3D9404C 18000080
	v_accvgpr_write_b32 a77, 0                                 // 00000000343C: D3D9404D 18000080
	buffer_load_dwordx4 v[108:111], v208, s[16:19], 0 offen    // 000000003444: E05C1000 80046CD0
	v_accvgpr_write_b32 a78, 0                                 // 00000000344C: D3D9404E 18000080
	v_accvgpr_write_b32 a79, 0                                 // 000000003454: D3D9404F 18000080
	v_accvgpr_write_b32 a80, 0                                 // 00000000345C: D3D94050 18000080
	v_accvgpr_write_b32 a81, 0                                 // 000000003464: D3D94051 18000080
	v_accvgpr_write_b32 a82, 0                                 // 00000000346C: D3D94052 18000080
	v_accvgpr_write_b32 a83, 0                                 // 000000003474: D3D94053 18000080
	buffer_load_dwordx4 v[112:115], v207, s[16:19], 0 offen offset:1024// 00000000347C: E05C1400 800470CF
	v_accvgpr_write_b32 a84, 0                                 // 000000003484: D3D94054 18000080
	v_accvgpr_write_b32 a85, 0                                 // 00000000348C: D3D94055 18000080
	v_accvgpr_write_b32 a86, 0                                 // 000000003494: D3D94056 18000080
	v_accvgpr_write_b32 a87, 0                                 // 00000000349C: D3D94057 18000080
	v_accvgpr_write_b32 a88, 0                                 // 0000000034A4: D3D94058 18000080
	v_accvgpr_write_b32 a89, 0                                 // 0000000034AC: D3D94059 18000080
	buffer_load_dwordx4 v[116:119], v208, s[16:19], 0 offen offset:1024// 0000000034B4: E05C1400 800474D0
	v_accvgpr_write_b32 a90, 0                                 // 0000000034BC: D3D9405A 18000080
	v_accvgpr_write_b32 a91, 0                                 // 0000000034C4: D3D9405B 18000080
	v_accvgpr_write_b32 a92, 0                                 // 0000000034CC: D3D9405C 18000080
	v_accvgpr_write_b32 a93, 0                                 // 0000000034D4: D3D9405D 18000080
	v_accvgpr_write_b32 a94, 0                                 // 0000000034DC: D3D9405E 18000080
	v_accvgpr_write_b32 a95, 0                                 // 0000000034E4: D3D9405F 18000080
	buffer_load_dword v190, v212, s[24:27], 0 offen            // 0000000034EC: E0501000 8006BED4
	v_accvgpr_write_b32 a96, 0                                 // 0000000034F4: D3D94060 18000080
	v_accvgpr_write_b32 a97, 0                                 // 0000000034FC: D3D94061 18000080
	v_accvgpr_write_b32 a98, 0                                 // 000000003504: D3D94062 18000080
	v_accvgpr_write_b32 a99, 0                                 // 00000000350C: D3D94063 18000080
	v_accvgpr_write_b32 a100, 0                                // 000000003514: D3D94064 18000080
	v_accvgpr_write_b32 a101, 0                                // 00000000351C: D3D94065 18000080
	buffer_load_dwordx4 v[120:123], v209, s[16:19], 0 offen    // 000000003524: E05C1000 800478D1
	v_accvgpr_write_b32 a102, 0                                // 00000000352C: D3D94066 18000080
	v_accvgpr_write_b32 a103, 0                                // 000000003534: D3D94067 18000080
	v_accvgpr_write_b32 a104, 0                                // 00000000353C: D3D94068 18000080
	v_accvgpr_write_b32 a105, 0                                // 000000003544: D3D94069 18000080
	v_accvgpr_write_b32 a106, 0                                // 00000000354C: D3D9406A 18000080
	v_accvgpr_write_b32 a107, 0                                // 000000003554: D3D9406B 18000080
	buffer_load_dwordx4 v[124:127], v210, s[16:19], 0 offen    // 00000000355C: E05C1000 80047CD2
	v_accvgpr_write_b32 a108, 0                                // 000000003564: D3D9406C 18000080
	v_accvgpr_write_b32 a109, 0                                // 00000000356C: D3D9406D 18000080
	v_accvgpr_write_b32 a110, 0                                // 000000003574: D3D9406E 18000080
	v_accvgpr_write_b32 a111, 0                                // 00000000357C: D3D9406F 18000080
	v_accvgpr_write_b32 a112, 0                                // 000000003584: D3D94070 18000080
	v_accvgpr_write_b32 a113, 0                                // 00000000358C: D3D94071 18000080
	buffer_load_dwordx4 v[128:131], v209, s[16:19], 0 offen offset:1024// 000000003594: E05C1400 800480D1
	v_accvgpr_write_b32 a114, 0                                // 00000000359C: D3D94072 18000080
	v_accvgpr_write_b32 a115, 0                                // 0000000035A4: D3D94073 18000080
	v_accvgpr_write_b32 a116, 0                                // 0000000035AC: D3D94074 18000080
	v_accvgpr_write_b32 a117, 0                                // 0000000035B4: D3D94075 18000080
	v_accvgpr_write_b32 a118, 0                                // 0000000035BC: D3D94076 18000080
	v_accvgpr_write_b32 a119, 0                                // 0000000035C4: D3D94077 18000080
	buffer_load_dwordx4 v[132:135], v210, s[16:19], 0 offen offset:1024// 0000000035CC: E05C1400 800484D2
	v_accvgpr_write_b32 a120, 0                                // 0000000035D4: D3D94078 18000080
	v_accvgpr_write_b32 a121, 0                                // 0000000035DC: D3D94079 18000080
	v_accvgpr_write_b32 a122, 0                                // 0000000035E4: D3D9407A 18000080
	v_accvgpr_write_b32 a123, 0                                // 0000000035EC: D3D9407B 18000080
	v_accvgpr_write_b32 a124, 0                                // 0000000035F4: D3D9407C 18000080
	v_accvgpr_write_b32 a125, 0                                // 0000000035FC: D3D9407D 18000080
	buffer_load_dword v191, v213, s[24:27], 0 offen            // 000000003604: E0501000 8006BFD5
	v_accvgpr_write_b32 a126, 0                                // 00000000360C: D3D9407E 18000080
	v_accvgpr_write_b32 a127, 0                                // 000000003614: D3D9407F 18000080
	v_accvgpr_write_b32 a128, 0                                // 00000000361C: D3D94080 18000080
	v_accvgpr_write_b32 a129, 0                                // 000000003624: D3D94081 18000080
	v_accvgpr_write_b32 a130, 0                                // 00000000362C: D3D94082 18000080
	v_accvgpr_write_b32 a131, 0                                // 000000003634: D3D94083 18000080
	s_add_u32 s63, 0x100, s60                                  // 00000000363C: 803F3CFF 00000100
	s_cmp_lt_u32 s63, s61                                      // 000000003644: BF0A3D3F
	s_cselect_b32 s67, s67, 0                                  // 000000003648: 85438043
	s_cselect_b32 s69, s69, 0                                  // 00000000364C: 85458045
	s_add_u32 s16, s16, s67                                    // 000000003650: 80104310
	s_addc_u32 s17, 0, s17                                     // 000000003654: 82111180
	s_sub_u32 s18, s18, s67                                    // 000000003658: 80924312
	s_add_u32 s24, s24, s69                                    // 00000000365C: 80184518
	s_addc_u32 s25, 0, s25                                     // 000000003660: 82191980
	s_sub_u32 s26, s26, s69                                    // 000000003664: 809A451A
	v_accvgpr_write_b32 a132, 0                                // 000000003668: D3D94084 18000080
	v_accvgpr_write_b32 a133, 0                                // 000000003670: D3D94085 18000080
	v_accvgpr_write_b32 a134, 0                                // 000000003678: D3D94086 18000080
	v_accvgpr_write_b32 a135, 0                                // 000000003680: D3D94087 18000080
	v_accvgpr_write_b32 a136, 0                                // 000000003688: D3D94088 18000080
	v_accvgpr_write_b32 a137, 0                                // 000000003690: D3D94089 18000080
	v_accvgpr_write_b32 a138, 0                                // 000000003698: D3D9408A 18000080
	v_accvgpr_write_b32 a139, 0                                // 0000000036A0: D3D9408B 18000080
	v_accvgpr_write_b32 a140, 0                                // 0000000036A8: D3D9408C 18000080
	v_accvgpr_write_b32 a141, 0                                // 0000000036B0: D3D9408D 18000080
	v_accvgpr_write_b32 a142, 0                                // 0000000036B8: D3D9408E 18000080
	v_accvgpr_write_b32 a143, 0                                // 0000000036C0: D3D9408F 18000080
	v_accvgpr_write_b32 a144, 0                                // 0000000036C8: D3D94090 18000080
	v_accvgpr_write_b32 a145, 0                                // 0000000036D0: D3D94091 18000080
	v_accvgpr_write_b32 a146, 0                                // 0000000036D8: D3D94092 18000080
	v_accvgpr_write_b32 a147, 0                                // 0000000036E0: D3D94093 18000080
	v_accvgpr_write_b32 a148, 0                                // 0000000036E8: D3D94094 18000080
	v_accvgpr_write_b32 a149, 0                                // 0000000036F0: D3D94095 18000080
	v_accvgpr_write_b32 a150, 0                                // 0000000036F8: D3D94096 18000080
	v_accvgpr_write_b32 a151, 0                                // 000000003700: D3D94097 18000080
	v_accvgpr_write_b32 a152, 0                                // 000000003708: D3D94098 18000080
	v_accvgpr_write_b32 a153, 0                                // 000000003710: D3D94099 18000080
	v_accvgpr_write_b32 a154, 0                                // 000000003718: D3D9409A 18000080
	v_accvgpr_write_b32 a155, 0                                // 000000003720: D3D9409B 18000080
	v_accvgpr_write_b32 a156, 0                                // 000000003728: D3D9409C 18000080
	v_accvgpr_write_b32 a157, 0                                // 000000003730: D3D9409D 18000080
	v_accvgpr_write_b32 a158, 0                                // 000000003738: D3D9409E 18000080
	v_accvgpr_write_b32 a159, 0                                // 000000003740: D3D9409F 18000080
	v_accvgpr_write_b32 a160, 0                                // 000000003748: D3D940A0 18000080
	v_accvgpr_write_b32 a161, 0                                // 000000003750: D3D940A1 18000080
	v_accvgpr_write_b32 a162, 0                                // 000000003758: D3D940A2 18000080
	v_accvgpr_write_b32 a163, 0                                // 000000003760: D3D940A3 18000080
	v_accvgpr_write_b32 a164, 0                                // 000000003768: D3D940A4 18000080
	v_accvgpr_write_b32 a165, 0                                // 000000003770: D3D940A5 18000080
	v_accvgpr_write_b32 a166, 0                                // 000000003778: D3D940A6 18000080
	v_accvgpr_write_b32 a167, 0                                // 000000003780: D3D940A7 18000080
	v_accvgpr_write_b32 a168, 0                                // 000000003788: D3D940A8 18000080
	v_accvgpr_write_b32 a169, 0                                // 000000003790: D3D940A9 18000080
	v_accvgpr_write_b32 a170, 0                                // 000000003798: D3D940AA 18000080
	v_accvgpr_write_b32 a171, 0                                // 0000000037A0: D3D940AB 18000080
	v_accvgpr_write_b32 a172, 0                                // 0000000037A8: D3D940AC 18000080
	v_accvgpr_write_b32 a173, 0                                // 0000000037B0: D3D940AD 18000080
	v_accvgpr_write_b32 a174, 0                                // 0000000037B8: D3D940AE 18000080
	v_accvgpr_write_b32 a175, 0                                // 0000000037C0: D3D940AF 18000080
	v_accvgpr_write_b32 a176, 0                                // 0000000037C8: D3D940B0 18000080
	v_accvgpr_write_b32 a177, 0                                // 0000000037D0: D3D940B1 18000080
	v_accvgpr_write_b32 a178, 0                                // 0000000037D8: D3D940B2 18000080
	v_accvgpr_write_b32 a179, 0                                // 0000000037E0: D3D940B3 18000080
	v_accvgpr_write_b32 a180, 0                                // 0000000037E8: D3D940B4 18000080
	v_accvgpr_write_b32 a181, 0                                // 0000000037F0: D3D940B5 18000080
	v_accvgpr_write_b32 a182, 0                                // 0000000037F8: D3D940B6 18000080
	v_accvgpr_write_b32 a183, 0                                // 000000003800: D3D940B7 18000080
	v_accvgpr_write_b32 a184, 0                                // 000000003808: D3D940B8 18000080
	v_accvgpr_write_b32 a185, 0                                // 000000003810: D3D940B9 18000080
	v_accvgpr_write_b32 a186, 0                                // 000000003818: D3D940BA 18000080
	v_accvgpr_write_b32 a187, 0                                // 000000003820: D3D940BB 18000080
	v_accvgpr_write_b32 a188, 0                                // 000000003828: D3D940BC 18000080
	v_accvgpr_write_b32 a189, 0                                // 000000003830: D3D940BD 18000080
	v_accvgpr_write_b32 a190, 0                                // 000000003838: D3D940BE 18000080
	v_accvgpr_write_b32 a191, 0                                // 000000003840: D3D940BF 18000080
	v_accvgpr_write_b32 a192, 0                                // 000000003848: D3D940C0 18000080
	v_accvgpr_write_b32 a193, 0                                // 000000003850: D3D940C1 18000080
	v_accvgpr_write_b32 a194, 0                                // 000000003858: D3D940C2 18000080
	v_accvgpr_write_b32 a195, 0                                // 000000003860: D3D940C3 18000080
	v_accvgpr_write_b32 a196, 0                                // 000000003868: D3D940C4 18000080
	v_accvgpr_write_b32 a197, 0                                // 000000003870: D3D940C5 18000080
	v_accvgpr_write_b32 a198, 0                                // 000000003878: D3D940C6 18000080
	v_accvgpr_write_b32 a199, 0                                // 000000003880: D3D940C7 18000080
	v_accvgpr_write_b32 a200, 0                                // 000000003888: D3D940C8 18000080
	v_accvgpr_write_b32 a201, 0                                // 000000003890: D3D940C9 18000080
	v_accvgpr_write_b32 a202, 0                                // 000000003898: D3D940CA 18000080
	v_accvgpr_write_b32 a203, 0                                // 0000000038A0: D3D940CB 18000080
	v_accvgpr_write_b32 a204, 0                                // 0000000038A8: D3D940CC 18000080
	v_accvgpr_write_b32 a205, 0                                // 0000000038B0: D3D940CD 18000080
	v_accvgpr_write_b32 a206, 0                                // 0000000038B8: D3D940CE 18000080
	v_accvgpr_write_b32 a207, 0                                // 0000000038C0: D3D940CF 18000080
	v_accvgpr_write_b32 a208, 0                                // 0000000038C8: D3D940D0 18000080
	v_accvgpr_write_b32 a209, 0                                // 0000000038D0: D3D940D1 18000080
	v_accvgpr_write_b32 a210, 0                                // 0000000038D8: D3D940D2 18000080
	v_accvgpr_write_b32 a211, 0                                // 0000000038E0: D3D940D3 18000080
	v_accvgpr_write_b32 a212, 0                                // 0000000038E8: D3D940D4 18000080
	v_accvgpr_write_b32 a213, 0                                // 0000000038F0: D3D940D5 18000080
	v_accvgpr_write_b32 a214, 0                                // 0000000038F8: D3D940D6 18000080
	v_accvgpr_write_b32 a215, 0                                // 000000003900: D3D940D7 18000080
	v_accvgpr_write_b32 a216, 0                                // 000000003908: D3D940D8 18000080
	v_accvgpr_write_b32 a217, 0                                // 000000003910: D3D940D9 18000080
	v_accvgpr_write_b32 a218, 0                                // 000000003918: D3D940DA 18000080
	v_accvgpr_write_b32 a219, 0                                // 000000003920: D3D940DB 18000080
	v_accvgpr_write_b32 a220, 0                                // 000000003928: D3D940DC 18000080
	v_accvgpr_write_b32 a221, 0                                // 000000003930: D3D940DD 18000080
	v_accvgpr_write_b32 a222, 0                                // 000000003938: D3D940DE 18000080
	v_accvgpr_write_b32 a223, 0                                // 000000003940: D3D940DF 18000080
	v_accvgpr_write_b32 a224, 0                                // 000000003948: D3D940E0 18000080
	v_accvgpr_write_b32 a225, 0                                // 000000003950: D3D940E1 18000080
	v_accvgpr_write_b32 a226, 0                                // 000000003958: D3D940E2 18000080
	v_accvgpr_write_b32 a227, 0                                // 000000003960: D3D940E3 18000080
	v_accvgpr_write_b32 a228, 0                                // 000000003968: D3D940E4 18000080
	v_accvgpr_write_b32 a229, 0                                // 000000003970: D3D940E5 18000080
	v_accvgpr_write_b32 a230, 0                                // 000000003978: D3D940E6 18000080
	v_accvgpr_write_b32 a231, 0                                // 000000003980: D3D940E7 18000080
	v_accvgpr_write_b32 a232, 0                                // 000000003988: D3D940E8 18000080
	v_accvgpr_write_b32 a233, 0                                // 000000003990: D3D940E9 18000080
	v_accvgpr_write_b32 a234, 0                                // 000000003998: D3D940EA 18000080
	v_accvgpr_write_b32 a235, 0                                // 0000000039A0: D3D940EB 18000080
	v_accvgpr_write_b32 a236, 0                                // 0000000039A8: D3D940EC 18000080
	v_accvgpr_write_b32 a237, 0                                // 0000000039B0: D3D940ED 18000080
	v_accvgpr_write_b32 a238, 0                                // 0000000039B8: D3D940EE 18000080
	v_accvgpr_write_b32 a239, 0                                // 0000000039C0: D3D940EF 18000080
	s_waitcnt vmcnt(18)                                        // 0000000039C8: BF8C4F72
	s_barrier                                                  // 0000000039CC: BF8A0000
	ds_read_b128 v[8:11], v200                                 // 0000000039D0: D9FE0000 080000C8
	ds_read_b128 v[16:19], v200 offset:64                      // 0000000039D8: D9FE0040 100000C8
	ds_read_b128 v[12:15], v200 offset:512                     // 0000000039E0: D9FE0200 0C0000C8
	ds_read_b128 v[20:23], v200 offset:576                     // 0000000039E8: D9FE0240 140000C8
	ds_read_b32 v184, v204                                     // 0000000039F0: D86C0000 B80000CC
	ds_read_b128 v[24:27], v200 offset:4224                    // 0000000039F8: D9FE1080 180000C8
	ds_read_b128 v[32:35], v200 offset:4288                    // 000000003A00: D9FE10C0 200000C8
	ds_read_b128 v[28:31], v200 offset:4736                    // 000000003A08: D9FE1280 1C0000C8
	ds_read_b128 v[36:39], v200 offset:4800                    // 000000003A10: D9FE12C0 240000C8
	ds_read_b32 v185, v204 offset:256                          // 000000003A18: D86C0100 B90000CC
	s_nop 0                                                    // 000000003A20: BF800000
	s_nop 0                                                    // 000000003A24: BF800000
	s_nop 0                                                    // 000000003A28: BF800000
	s_nop 0                                                    // 000000003A2C: BF800000
	s_nop 0                                                    // 000000003A30: BF800000
	s_lshl_b32 s36, s36, 1                                     // 000000003A34: 8E248124
	s_mul_i32 s62, s48, 0xa0                                   // 000000003A38: 923EFF30 000000A0
	s_mul_hi_u32 s63, s36, s62                                 // 000000003A40: 963F3E24
	s_add_u32 s5, s5, s63                                      // 000000003A44: 80053F05
	s_mul_i32 s63, s36, s62                                    // 000000003A48: 923F3E24
	s_add_u32 s4, s4, s63                                      // 000000003A4C: 80043F04
	s_addc_u32 s5, s5, 0                                       // 000000003A50: 82058005
	s_mul_i32 s63, s47, 0x180                                  // 000000003A54: 923FFF2F 00000180
	s_lshl_b32 s63, s63, 1                                     // 000000003A5C: 8E3F813F
	s_add_u32 s4, s4, s63                                      // 000000003A60: 80043F04
	s_addc_u32 s5, s5, 0                                       // 000000003A64: 82058005
	s_sub_i32 s62, s43, s62                                    // 000000003A68: 81BE3E2B
	s_cmp_lt_u32 s62, 0xa0                                     // 000000003A6C: BF0AFF3E 000000A0
	s_cselect_b32 s62, s62, 0xa0                               // 000000003A74: 853EFF3E 000000A0
	s_mul_i32 s62, s36, s62                                    // 000000003A7C: 923E3E24
	s_sub_i32 s6, s62, s63                                     // 000000003A80: 81863F3E
	s_mov_b32 s7, 0x20000                                      // 000000003A84: BE8700FF 00020000
	s_mul_i32 s62, s46, 0x60                                   // 000000003A8C: 923EFF2E 00000060
	s_lshl_b32 s62, s62, 1                                     // 000000003A94: 8E3E813E
	v_lshrrev_b32_e32 v4, 5, v0                                // 000000003A98: 20080085
	v_mul_i32_i24_e32 v4, 16, v4                               // 000000003A9C: 0C080890
	v_lshrrev_b32_e32 v5, 4, v0                                // 000000003AA0: 200A0084
	v_and_b32_e32 v5, 1, v5                                    // 000000003AA4: 260A0A81
	v_mul_i32_i24_e32 v5, 32, v5                               // 000000003AA8: 0C0A0AA0
	v_add_u32_e32 v4, v4, v5                                   // 000000003AAC: 68080B04
	v_and_b32_e32 v5, 15, v0                                   // 000000003AB0: 260A008F
	v_mul_lo_u32 v214, s36, v5                                 // 000000003AB4: D28500D6 00020A24
	v_add_u32_e32 v214, s62, v214                              // 000000003ABC: 69ADAC3E
	v_add_u32_e32 v214, v4, v214                               // 000000003AC0: 69ADAD04
	s_cmp_lt_i32 s46, 2                                        // 000000003AC4: BF04822E
	s_cbranch_scc0 label_0890                                  // 000000003AC8: BF8404DD

0000000000003acc <label_03B3>:
	s_waitcnt vmcnt(10) lgkmcnt(5)                             // 000000003ACC: BF8C057A
	s_barrier                                                  // 000000003AD0: BF8A0000
	v_mfma_scale_f32_16x16x128_f8f6f4 a[0:3], v[88:91], v[8:11], a[0:3], v189, v184 op_sel_hi:[0,0,0] cbsz:4 blgp:4// 000000003AD4: D3AC6000 000371BD D3AD8C00 84021158
	ds_read_b128 v[40:43], v200 offset:8448                    // 000000003AE4: D9FE2100 280000C8
	v_mfma_scale_f32_16x16x128_f8f6f4 a[4:7], v[88:91], v[12:15], a[4:7], v189, v184 op_sel_hi:[0,0,0] cbsz:4 blgp:4// 000000003AEC: D3AC7000 000371BD D3AD8C04 84121958
	s_add_u32 m0, 0x800, s65                                   // 000000003AFC: 807C41FF 00000800
	buffer_load_dword v202, s[20:23], 0 offen lds              // 000000003B04: E0511000 800500CA
	v_mfma_scale_f32_16x16x128_f8f6f4 a[8:11], v[92:95], v[8:11], a[8:11], v189, v184 op_sel_hi:[0,0,0] cbsz:4 blgp:4// 000000003B0C: D3AC6800 000371BD D3AD8C08 8422115C
	ds_read_b128 v[48:51], v200 offset:8512                    // 000000003B1C: D9FE2140 300000C8
	v_mfma_scale_f32_16x16x128_f8f6f4 a[12:15], v[92:95], v[12:15], a[12:15], v189, v184 op_sel_hi:[0,0,0] cbsz:4 blgp:4// 000000003B24: D3AC7800 000371BD D3AD8C0C 8432195C
	v_mfma_scale_f32_16x16x128_f8f6f4 a[0:3], v[96:99], v[16:19], a[0:3], v189, v184 op_sel_hi:[0,0,0] cbsz:4 blgp:4// 000000003B34: D3AC6000 180371BD D3AD8C00 84022160
	ds_read_b128 v[44:47], v200 offset:8960                    // 000000003B44: D9FE2300 2C0000C8
	v_mfma_scale_f32_16x16x128_f8f6f4 a[4:7], v[96:99], v[20:23], a[4:7], v189, v184 op_sel_hi:[0,0,0] cbsz:4 blgp:4// 000000003B4C: D3AC7000 180371BD D3AD8C04 84122960
	s_add_u32 m0, 0xc00, s65                                   // 000000003B5C: 807C41FF 00000C00
	buffer_load_dword v203, s[20:23], 0 offen lds              // 000000003B64: E0511000 800500CB
	v_mfma_scale_f32_16x16x128_f8f6f4 a[8:11], v[100:103], v[16:19], a[8:11], v189, v184 op_sel_hi:[0,0,0] cbsz:4 blgp:4// 000000003B6C: D3AC6800 180371BD D3AD8C08 84222164
	ds_read_b128 v[52:55], v200 offset:9024                    // 000000003B7C: D9FE2340 340000C8
	v_mfma_scale_f32_16x16x128_f8f6f4 a[12:15], v[100:103], v[20:23], a[12:15], v189, v184 op_sel_hi:[0,0,0] cbsz:4 blgp:4// 000000003B84: D3AC7800 180371BD D3AD8C0C 84322964
	ds_read_b32 v186, v204 offset:512                          // 000000003B94: D86C0200 BA0000CC
	s_waitcnt lgkmcnt(5)                                       // 000000003B9C: BF8CC57F
	v_mfma_scale_f32_16x16x128_f8f6f4 a[48:51], v[88:91], v[24:27], a[48:51], v189, v185 op_sel_hi:[0,0,0] cbsz:4 blgp:4// 000000003BA0: D3AC6000 000373BD D3AD8C30 84C23158
	ds_read_b128 v[56:59], v200 offset:12672                   // 000000003BB0: D9FE3180 380000C8
	v_mfma_scale_f32_16x16x128_f8f6f4 a[52:55], v[88:91], v[28:31], a[52:55], v189, v185 op_sel_hi:[0,0,0] cbsz:4 blgp:4// 000000003BB8: D3AC7000 000373BD D3AD8C34 84D23958
	s_add_u32 m0, 0x5280, s64                                  // 000000003BC8: 807C40FF 00005280
	buffer_load_dwordx4 v195, s[12:15], 0 offen lds            // 000000003BD0: E05D1000 800300C3
	v_mfma_scale_f32_16x16x128_f8f6f4 a[56:59], v[92:95], v[24:27], a[56:59], v189, v185 op_sel_hi:[0,0,0] cbsz:4 blgp:4// 000000003BD8: D3AC6800 000373BD D3AD8C38 84E2315C
	ds_read_b128 v[64:67], v200 offset:12736                   // 000000003BE8: D9FE31C0 400000C8
	v_mfma_scale_f32_16x16x128_f8f6f4 a[60:63], v[92:95], v[28:31], a[60:63], v189, v185 op_sel_hi:[0,0,0] cbsz:4 blgp:4// 000000003BF0: D3AC7800 000373BD D3AD8C3C 84F2395C
	v_mfma_scale_f32_16x16x128_f8f6f4 a[48:51], v[96:99], v[32:35], a[48:51], v189, v185 op_sel_hi:[0,0,0] cbsz:4 blgp:4// 000000003C00: D3AC6000 180373BD D3AD8C30 84C24160
	ds_read_b128 v[60:63], v200 offset:13184                   // 000000003C10: D9FE3380 3C0000C8
	v_mfma_scale_f32_16x16x128_f8f6f4 a[52:55], v[96:99], v[36:39], a[52:55], v189, v185 op_sel_hi:[0,0,0] cbsz:4 blgp:4// 000000003C18: D3AC7000 180373BD D3AD8C34 84D24960
	s_add_u32 m0, 0x6300, s64                                  // 000000003C28: 807C40FF 00006300
	buffer_load_dwordx4 v196, s[12:15], 0 offen lds            // 000000003C30: E05D1000 800300C4
	v_mfma_scale_f32_16x16x128_f8f6f4 a[56:59], v[100:103], v[32:35], a[56:59], v189, v185 op_sel_hi:[0,0,0] cbsz:4 blgp:4// 000000003C38: D3AC6800 180373BD D3AD8C38 84E24164
	ds_read_b128 v[68:71], v200 offset:13248                   // 000000003C48: D9FE33C0 440000C8
	v_mfma_scale_f32_16x16x128_f8f6f4 a[60:63], v[100:103], v[36:39], a[60:63], v189, v185 op_sel_hi:[0,0,0] cbsz:4 blgp:4// 000000003C50: D3AC7800 180373BD D3AD8C3C 84F24964
	ds_read_b32 v187, v204 offset:768                          // 000000003C60: D86C0300 BB0000CC
	s_waitcnt lgkmcnt(5)                                       // 000000003C68: BF8CC57F
	v_mfma_scale_f32_16x16x128_f8f6f4 a[96:99], v[88:91], v[40:43], a[96:99], v189, v186 op_sel_hi:[0,0,0] cbsz:4 blgp:4// 000000003C6C: D3AC6000 000375BD D3AD8C60 85825158
	ds_read_b128 v[72:75], v200 offset:16896                   // 000000003C7C: D9FE4200 480000C8
	v_mfma_scale_f32_16x16x128_f8f6f4 a[100:103], v[88:91], v[44:47], a[100:103], v189, v186 op_sel_hi:[0,0,0] cbsz:4 blgp:4// 000000003C84: D3AC7000 000375BD D3AD8C64 85925958
	buffer_load_dwordx4 v[136:139], v205, s[16:19], 0 offen    // 000000003C94: E05C1000 800488CD
	v_mfma_scale_f32_16x16x128_f8f6f4 a[104:107], v[92:95], v[40:43], a[104:107], v189, v186 op_sel_hi:[0,0,0] cbsz:4 blgp:4// 000000003C9C: D3AC6800 000375BD D3AD8C68 85A2515C
	ds_read_b128 v[80:83], v200 offset:16960                   // 000000003CAC: D9FE4240 500000C8
	v_mfma_scale_f32_16x16x128_f8f6f4 a[108:111], v[92:95], v[44:47], a[108:111], v189, v186 op_sel_hi:[0,0,0] cbsz:4 blgp:4// 000000003CB4: D3AC7800 000375BD D3AD8C6C 85B2595C
	v_mfma_scale_f32_16x16x128_f8f6f4 a[96:99], v[96:99], v[48:51], a[96:99], v189, v186 op_sel_hi:[0,0,0] cbsz:4 blgp:4// 000000003CC4: D3AC6000 180375BD D3AD8C60 85826160
	ds_read_b128 v[76:79], v200 offset:17408                   // 000000003CD4: D9FE4400 4C0000C8
	v_mfma_scale_f32_16x16x128_f8f6f4 a[100:103], v[96:99], v[52:55], a[100:103], v189, v186 op_sel_hi:[0,0,0] cbsz:4 blgp:4// 000000003CDC: D3AC7000 180375BD D3AD8C64 85926960
	buffer_load_dwordx4 v[140:143], v206, s[16:19], 0 offen    // 000000003CEC: E05C1000 80048CCE
	v_mfma_scale_f32_16x16x128_f8f6f4 a[104:107], v[100:103], v[48:51], a[104:107], v189, v186 op_sel_hi:[0,0,0] cbsz:4 blgp:4// 000000003CF4: D3AC6800 180375BD D3AD8C68 85A26164
	ds_read_b128 v[84:87], v200 offset:17472                   // 000000003D04: D9FE4440 540000C8
	v_mfma_scale_f32_16x16x128_f8f6f4 a[108:111], v[100:103], v[52:55], a[108:111], v189, v186 op_sel_hi:[0,0,0] cbsz:4 blgp:4// 000000003D0C: D3AC7800 180375BD D3AD8C6C 85B26964
	ds_read_b32 v188, v204 offset:1024                         // 000000003D1C: D86C0400 BC0000CC
	s_waitcnt lgkmcnt(5)                                       // 000000003D24: BF8CC57F
	v_mfma_scale_f32_16x16x128_f8f6f4 a[144:147], v[88:91], v[56:59], a[144:147], v189, v187 op_sel_hi:[0,0,0] cbsz:4 blgp:4// 000000003D28: D3AC6000 000377BD D3AD8C90 86427158
	v_mfma_scale_f32_16x16x128_f8f6f4 a[148:151], v[88:91], v[60:63], a[148:151], v189, v187 op_sel_hi:[0,0,0] cbsz:4 blgp:4// 000000003D38: D3AC7000 000377BD D3AD8C94 86527958
	buffer_load_dwordx4 v[144:147], v205, s[16:19], 0 offen offset:1024// 000000003D48: E05C1400 800490CD
	v_mfma_scale_f32_16x16x128_f8f6f4 a[152:155], v[92:95], v[56:59], a[152:155], v189, v187 op_sel_hi:[0,0,0] cbsz:4 blgp:4// 000000003D50: D3AC6800 000377BD D3AD8C98 8662715C
	v_mfma_scale_f32_16x16x128_f8f6f4 a[156:159], v[92:95], v[60:63], a[156:159], v189, v187 op_sel_hi:[0,0,0] cbsz:4 blgp:4// 000000003D60: D3AC7800 000377BD D3AD8C9C 8672795C
	v_mfma_scale_f32_16x16x128_f8f6f4 a[144:147], v[96:99], v[64:67], a[144:147], v189, v187 op_sel_hi:[0,0,0] cbsz:4 blgp:4// 000000003D70: D3AC6000 180377BD D3AD8C90 86428160
	v_mfma_scale_f32_16x16x128_f8f6f4 a[148:151], v[96:99], v[68:71], a[148:151], v189, v187 op_sel_hi:[0,0,0] cbsz:4 blgp:4// 000000003D80: D3AC7000 180377BD D3AD8C94 86528960
	buffer_load_dwordx4 v[148:151], v206, s[16:19], 0 offen offset:1024// 000000003D90: E05C1400 800494CE
	v_mfma_scale_f32_16x16x128_f8f6f4 a[152:155], v[100:103], v[64:67], a[152:155], v189, v187 op_sel_hi:[0,0,0] cbsz:4 blgp:4// 000000003D98: D3AC6800 180377BD D3AD8C98 86628164
	v_mfma_scale_f32_16x16x128_f8f6f4 a[156:159], v[100:103], v[68:71], a[156:159], v189, v187 op_sel_hi:[0,0,0] cbsz:4 blgp:4// 000000003DA8: D3AC7800 180377BD D3AD8C9C 86728964
	s_waitcnt lgkmcnt(0)                                       // 000000003DB8: BF8CC07F
	v_mfma_scale_f32_16x16x128_f8f6f4 a[192:195], v[88:91], v[72:75], a[192:195], v189, v188 op_sel_hi:[0,0,0] cbsz:4 blgp:4// 000000003DBC: D3AC6000 000379BD D3AD8CC0 87029158
	v_mfma_scale_f32_16x16x128_f8f6f4 a[196:199], v[88:91], v[76:79], a[196:199], v189, v188 op_sel_hi:[0,0,0] cbsz:4 blgp:4// 000000003DCC: D3AC7000 000379BD D3AD8CC4 87129958
	buffer_load_dword v192, v211, s[24:27], 0 offen            // 000000003DDC: E0501000 8006C0D3
	v_mfma_scale_f32_16x16x128_f8f6f4 a[200:203], v[92:95], v[72:75], a[200:203], v189, v188 op_sel_hi:[0,0,0] cbsz:4 blgp:4// 000000003DE4: D3AC6800 000379BD D3AD8CC8 8722915C
	v_mfma_scale_f32_16x16x128_f8f6f4 a[204:207], v[92:95], v[76:79], a[204:207], v189, v188 op_sel_hi:[0,0,0] cbsz:4 blgp:4// 000000003DF4: D3AC7800 000379BD D3AD8CCC 8732995C
	v_mfma_scale_f32_16x16x128_f8f6f4 a[192:195], v[96:99], v[80:83], a[192:195], v189, v188 op_sel_hi:[0,0,0] cbsz:4 blgp:4// 000000003E04: D3AC6000 180379BD D3AD8CC0 8702A160
	v_mfma_scale_f32_16x16x128_f8f6f4 a[196:199], v[96:99], v[84:87], a[196:199], v189, v188 op_sel_hi:[0,0,0] cbsz:4 blgp:4// 000000003E14: D3AC7000 180379BD D3AD8CC4 8712A960
	v_mfma_scale_f32_16x16x128_f8f6f4 a[200:203], v[100:103], v[80:83], a[200:203], v189, v188 op_sel_hi:[0,0,0] cbsz:4 blgp:4// 000000003E24: D3AC6800 180379BD D3AD8CC8 8722A164
	v_mfma_scale_f32_16x16x128_f8f6f4 a[204:207], v[100:103], v[84:87], a[204:207], v189, v188 op_sel_hi:[0,0,0] cbsz:4 blgp:4// 000000003E34: D3AC7800 180379BD D3AD8CCC 8732A964
	s_waitcnt vmcnt(14)                                        // 000000003E44: BF8C0F7E
	v_mfma_scale_f32_16x16x128_f8f6f4 a[16:19], v[104:107], v[8:11], a[16:19], v190, v184 op_sel_hi:[0,0,0] cbsz:4 blgp:4// 000000003E48: D3AC6000 000371BE D3AD8C10 84421168
	v_mfma_scale_f32_16x16x128_f8f6f4 a[20:23], v[104:107], v[12:15], a[20:23], v190, v184 op_sel_hi:[0,0,0] cbsz:4 blgp:4// 000000003E58: D3AC7000 000371BE D3AD8C14 84521968
	s_add_u32 m0, 0x7380, s64                                  // 000000003E68: 807C40FF 00007380
	buffer_load_dwordx4 v197, s[12:15], 0 offen lds            // 000000003E70: E05D1000 800300C5
	v_mfma_scale_f32_16x16x128_f8f6f4 a[24:27], v[108:111], v[8:11], a[24:27], v190, v184 op_sel_hi:[0,0,0] cbsz:4 blgp:4// 000000003E78: D3AC4800 000371BE D3AD8C18 8462116C
	v_mfma_scale_f32_16x16x128_f8f6f4 a[28:31], v[108:111], v[12:15], a[28:31], v190, v184 op_sel_hi:[0,0,0] cbsz:4 blgp:4// 000000003E88: D3AC5800 000371BE D3AD8C1C 8472196C
	v_mfma_scale_f32_16x16x128_f8f6f4 a[16:19], v[112:115], v[16:19], a[16:19], v190, v184 op_sel_hi:[0,0,0] cbsz:4 blgp:4// 000000003E98: D3AC4000 180371BE D3AD8C10 84422170
	v_mfma_scale_f32_16x16x128_f8f6f4 a[20:23], v[112:115], v[20:23], a[20:23], v190, v184 op_sel_hi:[0,0,0] cbsz:4 blgp:4// 000000003EA8: D3AC5000 180371BE D3AD8C14 84522970
	s_add_u32 m0, 0x8400, s64                                  // 000000003EB8: 807C40FF 00008400
	buffer_load_dwordx4 v198, s[12:15], 0 offen lds            // 000000003EC0: E05D1000 800300C6
	v_mfma_scale_f32_16x16x128_f8f6f4 a[24:27], v[116:119], v[16:19], a[24:27], v190, v184 op_sel_hi:[0,0,0] cbsz:4 blgp:4// 000000003EC8: D3AC6800 180371BE D3AD8C18 84622174
	v_mfma_scale_f32_16x16x128_f8f6f4 a[28:31], v[116:119], v[20:23], a[28:31], v190, v184 op_sel_hi:[0,0,0] cbsz:4 blgp:4// 000000003ED8: D3AC5800 180371BE D3AD8C1C 84722974
	v_mfma_scale_f32_16x16x128_f8f6f4 a[64:67], v[104:107], v[24:27], a[64:67], v190, v185 op_sel_hi:[0,0,0] cbsz:4 blgp:4// 000000003EE8: D3AC4000 000373BE D3AD8C40 85023168
	v_mfma_scale_f32_16x16x128_f8f6f4 a[68:71], v[104:107], v[28:31], a[68:71], v190, v185 op_sel_hi:[0,0,0] cbsz:4 blgp:4// 000000003EF8: D3AC5000 000373BE D3AD8C44 85123968
	s_add_u32 m0, 0x9480, s64                                  // 000000003F08: 807C40FF 00009480
	buffer_load_dwordx4 v199, s[12:15], 0 offen lds            // 000000003F10: E05D1000 800300C7
	v_mfma_scale_f32_16x16x128_f8f6f4 a[72:75], v[108:111], v[24:27], a[72:75], v190, v185 op_sel_hi:[0,0,0] cbsz:4 blgp:4// 000000003F18: D3AC6800 000373BE D3AD8C48 8522316C
	s_add_u32 s62, 0x200, s60                                  // 000000003F28: 803E3CFF 00000200
	s_cmp_lt_u32 s62, s61                                      // 000000003F30: BF0A3D3E
	v_mfma_scale_f32_16x16x128_f8f6f4 a[76:79], v[108:111], v[28:31], a[76:79], v190, v185 op_sel_hi:[0,0,0] cbsz:4 blgp:4// 000000003F34: D3AC7800 000373BE D3AD8C4C 8532396C
	s_cselect_b32 s66, s66, 0                                  // 000000003F44: 85428042
	s_cselect_b32 s68, s68, 0                                  // 000000003F48: 85448044
	v_mfma_scale_f32_16x16x128_f8f6f4 a[64:67], v[112:115], v[32:35], a[64:67], v190, v185 op_sel_hi:[0,0,0] cbsz:4 blgp:4// 000000003F4C: D3AC4000 180373BE D3AD8C40 85024170
	s_add_u32 s12, s12, s66                                    // 000000003F5C: 800C420C
	s_addc_u32 s13, 0, s13                                     // 000000003F60: 820D0D80
	v_mfma_scale_f32_16x16x128_f8f6f4 a[68:71], v[112:115], v[36:39], a[68:71], v190, v185 op_sel_hi:[0,0,0] cbsz:4 blgp:4// 000000003F64: D3AC5000 180373BE D3AD8C44 85124970
	s_sub_u32 s14, s14, s66                                    // 000000003F74: 808E420E
	buffer_load_dwordx4 v[152:155], v207, s[16:19], 0 offen    // 000000003F78: E05C1000 800498CF
	v_mfma_scale_f32_16x16x128_f8f6f4 a[72:75], v[116:119], v[32:35], a[72:75], v190, v185 op_sel_hi:[0,0,0] cbsz:4 blgp:4// 000000003F80: D3AC6800 180373BE D3AD8C48 85224174
	s_add_u32 s20, s20, s68                                    // 000000003F90: 80144414
	s_addc_u32 s21, 0, s21                                     // 000000003F94: 82151580
	v_mfma_scale_f32_16x16x128_f8f6f4 a[76:79], v[116:119], v[36:39], a[76:79], v190, v185 op_sel_hi:[0,0,0] cbsz:4 blgp:4// 000000003F98: D3AC5800 180373BE D3AD8C4C 85324974
	s_sub_u32 s22, s22, s68                                    // 000000003FA8: 80964416
	v_mfma_scale_f32_16x16x128_f8f6f4 a[112:115], v[104:107], v[40:43], a[112:115], v190, v186 op_sel_hi:[0,0,0] cbsz:4 blgp:4// 000000003FAC: D3AC4000 000375BE D3AD8C70 85C25168
	v_mfma_scale_f32_16x16x128_f8f6f4 a[116:119], v[104:107], v[44:47], a[116:119], v190, v186 op_sel_hi:[0,0,0] cbsz:4 blgp:4// 000000003FBC: D3AC5000 000375BE D3AD8C74 85D25968
	buffer_load_dwordx4 v[156:159], v208, s[16:19], 0 offen    // 000000003FCC: E05C1000 80049CD0
	v_mfma_scale_f32_16x16x128_f8f6f4 a[120:123], v[108:111], v[40:43], a[120:123], v190, v186 op_sel_hi:[0,0,0] cbsz:4 blgp:4// 000000003FD4: D3AC6800 000375BE D3AD8C78 85E2516C
	v_mfma_scale_f32_16x16x128_f8f6f4 a[124:127], v[108:111], v[44:47], a[124:127], v190, v186 op_sel_hi:[0,0,0] cbsz:4 blgp:4// 000000003FE4: D3AC5800 000375BE D3AD8C7C 85F2596C
	v_mfma_scale_f32_16x16x128_f8f6f4 a[112:115], v[112:115], v[48:51], a[112:115], v190, v186 op_sel_hi:[0,0,0] cbsz:4 blgp:4// 000000003FF4: D3AC4000 180375BE D3AD8C70 85C26170
	v_mfma_scale_f32_16x16x128_f8f6f4 a[116:119], v[112:115], v[52:55], a[116:119], v190, v186 op_sel_hi:[0,0,0] cbsz:4 blgp:4// 000000004004: D3AC5000 180375BE D3AD8C74 85D26970
	buffer_load_dwordx4 v[160:163], v207, s[16:19], 0 offen offset:1024// 000000004014: E05C1400 8004A0CF
	v_mfma_scale_f32_16x16x128_f8f6f4 a[120:123], v[116:119], v[48:51], a[120:123], v190, v186 op_sel_hi:[0,0,0] cbsz:4 blgp:4// 00000000401C: D3AC6800 180375BE D3AD8C78 85E26174
	v_mfma_scale_f32_16x16x128_f8f6f4 a[124:127], v[116:119], v[52:55], a[124:127], v190, v186 op_sel_hi:[0,0,0] cbsz:4 blgp:4// 00000000402C: D3AC7800 180375BE D3AD8C7C 85F26974
	v_mfma_scale_f32_16x16x128_f8f6f4 a[160:163], v[104:107], v[56:59], a[160:163], v190, v187 op_sel_hi:[0,0,0] cbsz:4 blgp:4// 00000000403C: D3AC6000 000377BE D3AD8CA0 86827168
	v_mfma_scale_f32_16x16x128_f8f6f4 a[164:167], v[104:107], v[60:63], a[164:167], v190, v187 op_sel_hi:[0,0,0] cbsz:4 blgp:4// 00000000404C: D3AC7000 000377BE D3AD8CA4 86927968
	buffer_load_dwordx4 v[164:167], v208, s[16:19], 0 offen offset:1024// 00000000405C: E05C1400 8004A4D0
	v_mfma_scale_f32_16x16x128_f8f6f4 a[168:171], v[108:111], v[56:59], a[168:171], v190, v187 op_sel_hi:[0,0,0] cbsz:4 blgp:4// 000000004064: D3AC4800 000377BE D3AD8CA8 86A2716C
	v_mfma_scale_f32_16x16x128_f8f6f4 a[172:175], v[108:111], v[60:63], a[172:175], v190, v187 op_sel_hi:[0,0,0] cbsz:4 blgp:4// 000000004074: D3AC7800 000377BE D3AD8CAC 86B2796C
	v_mfma_scale_f32_16x16x128_f8f6f4 a[160:163], v[112:115], v[64:67], a[160:163], v190, v187 op_sel_hi:[0,0,0] cbsz:4 blgp:4// 000000004084: D3AC6000 180377BE D3AD8CA0 86828170
	v_mfma_scale_f32_16x16x128_f8f6f4 a[164:167], v[112:115], v[68:71], a[164:167], v190, v187 op_sel_hi:[0,0,0] cbsz:4 blgp:4// 000000004094: D3AC7000 180377BE D3AD8CA4 86928970
	buffer_load_dword v193, v212, s[24:27], 0 offen            // 0000000040A4: E0501000 8006C1D4
	v_mfma_scale_f32_16x16x128_f8f6f4 a[168:171], v[116:119], v[64:67], a[168:171], v190, v187 op_sel_hi:[0,0,0] cbsz:4 blgp:4// 0000000040AC: D3AC6800 180377BE D3AD8CA8 86A28174
	v_mfma_scale_f32_16x16x128_f8f6f4 a[172:175], v[116:119], v[68:71], a[172:175], v190, v187 op_sel_hi:[0,0,0] cbsz:4 blgp:4// 0000000040BC: D3AC7800 180377BE D3AD8CAC 86B28974
	v_mfma_scale_f32_16x16x128_f8f6f4 a[208:211], v[104:107], v[72:75], a[208:211], v190, v188 op_sel_hi:[0,0,0] cbsz:4 blgp:4// 0000000040CC: D3AC6000 000379BE D3AD8CD0 87429168
	v_mfma_scale_f32_16x16x128_f8f6f4 a[212:215], v[104:107], v[76:79], a[212:215], v190, v188 op_sel_hi:[0,0,0] cbsz:4 blgp:4// 0000000040DC: D3AC7000 000379BE D3AD8CD4 87529968
	v_mfma_scale_f32_16x16x128_f8f6f4 a[216:219], v[108:111], v[72:75], a[216:219], v190, v188 op_sel_hi:[0,0,0] cbsz:4 blgp:4// 0000000040EC: D3AC6800 000379BE D3AD8CD8 8762916C
	v_mfma_scale_f32_16x16x128_f8f6f4 a[220:223], v[108:111], v[76:79], a[220:223], v190, v188 op_sel_hi:[0,0,0] cbsz:4 blgp:4// 0000000040FC: D3AC7800 000379BE D3AD8CDC 8772996C
	v_mfma_scale_f32_16x16x128_f8f6f4 a[208:211], v[112:115], v[80:83], a[208:211], v190, v188 op_sel_hi:[0,0,0] cbsz:4 blgp:4// 00000000410C: D3AC6000 180379BE D3AD8CD0 8742A170
	v_mfma_scale_f32_16x16x128_f8f6f4 a[212:215], v[112:115], v[84:87], a[212:215], v190, v188 op_sel_hi:[0,0,0] cbsz:4 blgp:4// 00000000411C: D3AC7000 180379BE D3AD8CD4 8752A970
	v_mfma_scale_f32_16x16x128_f8f6f4 a[216:219], v[116:119], v[80:83], a[216:219], v190, v188 op_sel_hi:[0,0,0] cbsz:4 blgp:4// 00000000412C: D3AC6800 180379BE D3AD8CD8 8762A174
	v_mfma_scale_f32_16x16x128_f8f6f4 a[220:223], v[116:119], v[84:87], a[220:223], v190, v188 op_sel_hi:[0,0,0] cbsz:4 blgp:4// 00000000413C: D3AC7800 180379BE D3AD8CDC 8772A974
	s_waitcnt vmcnt(17)                                        // 00000000414C: BF8C4F71
	v_mfma_scale_f32_16x16x128_f8f6f4 a[32:35], v[120:123], v[8:11], a[32:35], v191, v184 op_sel_hi:[0,0,0] cbsz:4 blgp:4// 000000004150: D3AC6000 000371BF D3AD8C20 84821178
	s_add_u32 s63, 0x200, s60                                  // 000000004160: 803F3CFF 00000200
	s_cmp_lt_u32 s63, s61                                      // 000000004168: BF0A3D3F
	v_mfma_scale_f32_16x16x128_f8f6f4 a[36:39], v[120:123], v[12:15], a[36:39], v191, v184 op_sel_hi:[0,0,0] cbsz:4 blgp:4// 00000000416C: D3AC7000 000371BF D3AD8C24 84921978
	s_cselect_b32 s67, s67, 0                                  // 00000000417C: 85438043
	buffer_load_dwordx4 v[168:171], v209, s[16:19], 0 offen    // 000000004180: E05C1000 8004A8D1
	v_mfma_scale_f32_16x16x128_f8f6f4 a[40:43], v[124:127], v[8:11], a[40:43], v191, v184 op_sel_hi:[0,0,0] cbsz:4 blgp:4// 000000004188: D3AC6800 000371BF D3AD8C28 84A2117C
	s_cselect_b32 s69, s69, 0                                  // 000000004198: 85458045
	v_mfma_scale_f32_16x16x128_f8f6f4 a[44:47], v[124:127], v[12:15], a[44:47], v191, v184 op_sel_hi:[0,0,0] cbsz:4 blgp:4// 00000000419C: D3AC7800 000371BF D3AD8C2C 84B2197C
	v_mfma_scale_f32_16x16x128_f8f6f4 a[32:35], v[128:131], v[16:19], a[32:35], v191, v184 op_sel_hi:[0,0,0] cbsz:4 blgp:4// 0000000041AC: D3AC6000 180371BF D3AD8C20 84822180
	v_mfma_scale_f32_16x16x128_f8f6f4 a[36:39], v[128:131], v[20:23], a[36:39], v191, v184 op_sel_hi:[0,0,0] cbsz:4 blgp:4// 0000000041BC: D3AC7000 180371BF D3AD8C24 84922980
	buffer_load_dwordx4 v[172:175], v210, s[16:19], 0 offen    // 0000000041CC: E05C1000 8004ACD2
	v_mfma_scale_f32_16x16x128_f8f6f4 a[40:43], v[132:135], v[16:19], a[40:43], v191, v184 op_sel_hi:[0,0,0] cbsz:4 blgp:4// 0000000041D4: D3AC6800 180371BF D3AD8C28 84A22184
	v_mfma_scale_f32_16x16x128_f8f6f4 a[44:47], v[132:135], v[20:23], a[44:47], v191, v184 op_sel_hi:[0,0,0] cbsz:4 blgp:4// 0000000041E4: D3AC7800 180371BF D3AD8C2C 84B22984
	v_mfma_scale_f32_16x16x128_f8f6f4 a[80:83], v[120:123], v[24:27], a[80:83], v191, v185 op_sel_hi:[0,0,0] cbsz:4 blgp:4// 0000000041F4: D3AC6000 000373BF D3AD8C50 85423178
	v_mfma_scale_f32_16x16x128_f8f6f4 a[84:87], v[120:123], v[28:31], a[84:87], v191, v185 op_sel_hi:[0,0,0] cbsz:4 blgp:4// 000000004204: D3AC7000 000373BF D3AD8C54 85523978
	buffer_load_dwordx4 v[176:179], v209, s[16:19], 0 offen offset:1024// 000000004214: E05C1400 8004B0D1
	v_mfma_scale_f32_16x16x128_f8f6f4 a[88:91], v[124:127], v[24:27], a[88:91], v191, v185 op_sel_hi:[0,0,0] cbsz:4 blgp:4// 00000000421C: D3AC6800 000373BF D3AD8C58 8562317C
	v_mfma_scale_f32_16x16x128_f8f6f4 a[92:95], v[124:127], v[28:31], a[92:95], v191, v185 op_sel_hi:[0,0,0] cbsz:4 blgp:4// 00000000422C: D3AC7800 000373BF D3AD8C5C 8572397C
	v_mfma_scale_f32_16x16x128_f8f6f4 a[80:83], v[128:131], v[32:35], a[80:83], v191, v185 op_sel_hi:[0,0,0] cbsz:4 blgp:4// 00000000423C: D3AC6000 180373BF D3AD8C50 85424180
	v_mfma_scale_f32_16x16x128_f8f6f4 a[84:87], v[128:131], v[36:39], a[84:87], v191, v185 op_sel_hi:[0,0,0] cbsz:4 blgp:4// 00000000424C: D3AC7000 180373BF D3AD8C54 85524980
	buffer_load_dwordx4 v[180:183], v210, s[16:19], 0 offen offset:1024// 00000000425C: E05C1400 8004B4D2
	v_mfma_scale_f32_16x16x128_f8f6f4 a[88:91], v[132:135], v[32:35], a[88:91], v191, v185 op_sel_hi:[0,0,0] cbsz:4 blgp:4// 000000004264: D3AC6800 180373BF D3AD8C58 85624184
	v_mfma_scale_f32_16x16x128_f8f6f4 a[92:95], v[132:135], v[36:39], a[92:95], v191, v185 op_sel_hi:[0,0,0] cbsz:4 blgp:4// 000000004274: D3AC7800 180373BF D3AD8C5C 85724984
	v_mfma_scale_f32_16x16x128_f8f6f4 a[128:131], v[120:123], v[40:43], a[128:131], v191, v186 op_sel_hi:[0,0,0] cbsz:4 blgp:4// 000000004284: D3AC6000 000375BF D3AD8C80 86025178
	v_mfma_scale_f32_16x16x128_f8f6f4 a[132:135], v[120:123], v[44:47], a[132:135], v191, v186 op_sel_hi:[0,0,0] cbsz:4 blgp:4// 000000004294: D3AC7000 000375BF D3AD8C84 86125978
	buffer_load_dword v194, v213, s[24:27], 0 offen            // 0000000042A4: E0501000 8006C2D5
	v_mfma_scale_f32_16x16x128_f8f6f4 a[136:139], v[124:127], v[40:43], a[136:139], v191, v186 op_sel_hi:[0,0,0] cbsz:4 blgp:4// 0000000042AC: D3AC6800 000375BF D3AD8C88 8622517C
	s_add_u32 s16, s16, s67                                    // 0000000042BC: 80104310
	s_addc_u32 s17, 0, s17                                     // 0000000042C0: 82111180
	v_mfma_scale_f32_16x16x128_f8f6f4 a[140:143], v[124:127], v[44:47], a[140:143], v191, v186 op_sel_hi:[0,0,0] cbsz:4 blgp:4// 0000000042C4: D3AC7800 000375BF D3AD8C8C 8632597C
	s_sub_u32 s18, s18, s67                                    // 0000000042D4: 80924312
	s_add_u32 s24, s24, s69                                    // 0000000042D8: 80184518
	v_mfma_scale_f32_16x16x128_f8f6f4 a[128:131], v[128:131], v[48:51], a[128:131], v191, v186 op_sel_hi:[0,0,0] cbsz:4 blgp:4// 0000000042DC: D3AC6000 180375BF D3AD8C80 86026180
	s_addc_u32 s25, 0, s25                                     // 0000000042EC: 82191980
	s_sub_u32 s26, s26, s69                                    // 0000000042F0: 809A451A
	v_mfma_scale_f32_16x16x128_f8f6f4 a[132:135], v[128:131], v[52:55], a[132:135], v191, v186 op_sel_hi:[0,0,0] cbsz:4 blgp:4// 0000000042F4: D3AC7000 180375BF D3AD8C84 86126980
	s_addk_i32 s60, 0x100                                      // 000000004304: B73C0100
	s_cmp_lt_i32 s60, s61                                      // 000000004308: BF043D3C
	v_mfma_scale_f32_16x16x128_f8f6f4 a[136:139], v[132:135], v[48:51], a[136:139], v191, v186 op_sel_hi:[0,0,0] cbsz:4 blgp:4// 00000000430C: D3AC6800 180375BF D3AD8C88 86226184
	v_mfma_scale_f32_16x16x128_f8f6f4 a[140:143], v[132:135], v[52:55], a[140:143], v191, v186 op_sel_hi:[0,0,0] cbsz:4 blgp:4// 00000000431C: D3AC7800 180375BF D3AD8C8C 86326984
	s_waitcnt vmcnt(18)                                        // 00000000432C: BF8C4F72
	s_barrier                                                  // 000000004330: BF8A0000
	v_mfma_scale_f32_16x16x128_f8f6f4 a[176:179], v[120:123], v[56:59], a[176:179], v191, v187 op_sel_hi:[0,0,0] cbsz:4 blgp:4// 000000004334: D3AC6000 000377BF D3AD8CB0 86C27178
	ds_read_b128 v[8:11], v201                                 // 000000004344: D9FE0000 080000C9
	v_mfma_scale_f32_16x16x128_f8f6f4 a[180:183], v[120:123], v[60:63], a[180:183], v191, v187 op_sel_hi:[0,0,0] cbsz:4 blgp:4// 00000000434C: D3AC7000 000377BF D3AD8CB4 86D27978
	v_mfma_scale_f32_16x16x128_f8f6f4 a[184:187], v[124:127], v[56:59], a[184:187], v191, v187 op_sel_hi:[0,0,0] cbsz:4 blgp:4// 00000000435C: D3AC6800 000377BF D3AD8CB8 86E2717C
	ds_read_b128 v[16:19], v201 offset:64                      // 00000000436C: D9FE0040 100000C9
	v_mfma_scale_f32_16x16x128_f8f6f4 a[188:191], v[124:127], v[60:63], a[188:191], v191, v187 op_sel_hi:[0,0,0] cbsz:4 blgp:4// 000000004374: D3AC7800 000377BF D3AD8CBC 86F2797C
	v_mfma_scale_f32_16x16x128_f8f6f4 a[176:179], v[128:131], v[64:67], a[176:179], v191, v187 op_sel_hi:[0,0,0] cbsz:4 blgp:4// 000000004384: D3AC6000 180377BF D3AD8CB0 86C28180
	ds_read_b128 v[12:15], v201 offset:512                     // 000000004394: D9FE0200 0C0000C9
	v_mfma_scale_f32_16x16x128_f8f6f4 a[180:183], v[128:131], v[68:71], a[180:183], v191, v187 op_sel_hi:[0,0,0] cbsz:4 blgp:4// 00000000439C: D3AC7000 180377BF D3AD8CB4 86D28980
	v_mfma_scale_f32_16x16x128_f8f6f4 a[184:187], v[132:135], v[64:67], a[184:187], v191, v187 op_sel_hi:[0,0,0] cbsz:4 blgp:4// 0000000043AC: D3AC6800 180377BF D3AD8CB8 86E28184
	ds_read_b128 v[20:23], v201 offset:576                     // 0000000043BC: D9FE0240 140000C9
	v_mfma_scale_f32_16x16x128_f8f6f4 a[188:191], v[132:135], v[68:71], a[188:191], v191, v187 op_sel_hi:[0,0,0] cbsz:4 blgp:4// 0000000043C4: D3AC7800 180377BF D3AD8CBC 86F28984
	ds_read_b32 v184, v204 offset:2048                         // 0000000043D4: D86C0800 B80000CC
	v_mfma_scale_f32_16x16x128_f8f6f4 a[224:227], v[120:123], v[72:75], a[224:227], v191, v188 op_sel_hi:[0,0,0] cbsz:4 blgp:4// 0000000043DC: D3AC6000 000379BF D3AD8CE0 87829178
	ds_read_b128 v[24:27], v201 offset:4224                    // 0000000043EC: D9FE1080 180000C9
	v_mfma_scale_f32_16x16x128_f8f6f4 a[228:231], v[120:123], v[76:79], a[228:231], v191, v188 op_sel_hi:[0,0,0] cbsz:4 blgp:4// 0000000043F4: D3AC7000 000379BF D3AD8CE4 87929978
	v_mfma_scale_f32_16x16x128_f8f6f4 a[232:235], v[124:127], v[72:75], a[232:235], v191, v188 op_sel_hi:[0,0,0] cbsz:4 blgp:4// 000000004404: D3AC6800 000379BF D3AD8CE8 87A2917C
	ds_read_b128 v[32:35], v201 offset:4288                    // 000000004414: D9FE10C0 200000C9
	v_mfma_scale_f32_16x16x128_f8f6f4 a[236:239], v[124:127], v[76:79], a[236:239], v191, v188 op_sel_hi:[0,0,0] cbsz:4 blgp:4// 00000000441C: D3AC7800 000379BF D3AD8CEC 87B2997C
	v_mfma_scale_f32_16x16x128_f8f6f4 a[224:227], v[128:131], v[80:83], a[224:227], v191, v188 op_sel_hi:[0,0,0] cbsz:4 blgp:4// 00000000442C: D3AC6000 180379BF D3AD8CE0 8782A180
	ds_read_b128 v[28:31], v201 offset:4736                    // 00000000443C: D9FE1280 1C0000C9
	v_mfma_scale_f32_16x16x128_f8f6f4 a[228:231], v[128:131], v[84:87], a[228:231], v191, v188 op_sel_hi:[0,0,0] cbsz:4 blgp:4// 000000004444: D3AC7000 180379BF D3AD8CE4 8792A980
	v_mfma_scale_f32_16x16x128_f8f6f4 a[232:235], v[132:135], v[80:83], a[232:235], v191, v188 op_sel_hi:[0,0,0] cbsz:4 blgp:4// 000000004454: D3AC6800 180379BF D3AD8CE8 87A2A184
	ds_read_b128 v[36:39], v201 offset:4800                    // 000000004464: D9FE12C0 240000C9
	v_mfma_scale_f32_16x16x128_f8f6f4 a[236:239], v[132:135], v[84:87], a[236:239], v191, v188 op_sel_hi:[0,0,0] cbsz:4 blgp:4// 00000000446C: D3AC7800 180379BF D3AD8CEC 87B2A984
	ds_read_b32 v185, v204 offset:2304                         // 00000000447C: D86C0900 B90000CC
	s_cbranch_scc0 label_0D6D                                  // 000000004484: BF84074B
	s_waitcnt vmcnt(10) lgkmcnt(5)                             // 000000004488: BF8C057A
	s_barrier                                                  // 00000000448C: BF8A0000
	v_mfma_scale_f32_16x16x128_f8f6f4 a[0:3], v[136:139], v[8:11], a[0:3], v192, v184 op_sel_hi:[0,0,0] cbsz:4 blgp:4// 000000004490: D3AC6000 000371C0 D3AD8C00 84021188
	ds_read_b128 v[40:43], v201 offset:8448                    // 0000000044A0: D9FE2100 280000C9
	v_mfma_scale_f32_16x16x128_f8f6f4 a[4:7], v[136:139], v[12:15], a[4:7], v192, v184 op_sel_hi:[0,0,0] cbsz:4 blgp:4// 0000000044A8: D3AC7000 000371C0 D3AD8C04 84121988
	s_add_u32 m0, 0, s65                                       // 0000000044B8: 807C4180
	buffer_load_dword v202, s[20:23], 0 offen lds              // 0000000044BC: E0511000 800500CA
	v_mfma_scale_f32_16x16x128_f8f6f4 a[8:11], v[140:143], v[8:11], a[8:11], v192, v184 op_sel_hi:[0,0,0] cbsz:4 blgp:4// 0000000044C4: D3AC6800 000371C0 D3AD8C08 8422118C
	ds_read_b128 v[48:51], v201 offset:8512                    // 0000000044D4: D9FE2140 300000C9
	v_mfma_scale_f32_16x16x128_f8f6f4 a[12:15], v[140:143], v[12:15], a[12:15], v192, v184 op_sel_hi:[0,0,0] cbsz:4 blgp:4// 0000000044DC: D3AC7800 000371C0 D3AD8C0C 8432198C
	v_mfma_scale_f32_16x16x128_f8f6f4 a[0:3], v[144:147], v[16:19], a[0:3], v192, v184 op_sel_hi:[0,0,0] cbsz:4 blgp:4// 0000000044EC: D3AC6000 180371C0 D3AD8C00 84022190
	ds_read_b128 v[44:47], v201 offset:8960                    // 0000000044FC: D9FE2300 2C0000C9
	v_mfma_scale_f32_16x16x128_f8f6f4 a[4:7], v[144:147], v[20:23], a[4:7], v192, v184 op_sel_hi:[0,0,0] cbsz:4 blgp:4// 000000004504: D3AC7000 180371C0 D3AD8C04 84122990
	s_add_u32 m0, 0x400, s65                                   // 000000004514: 807C41FF 00000400
	buffer_load_dword v203, s[20:23], 0 offen lds              // 00000000451C: E0511000 800500CB
	v_mfma_scale_f32_16x16x128_f8f6f4 a[8:11], v[148:151], v[16:19], a[8:11], v192, v184 op_sel_hi:[0,0,0] cbsz:4 blgp:4// 000000004524: D3AC6800 180371C0 D3AD8C08 84222194
	ds_read_b128 v[52:55], v201 offset:9024                    // 000000004534: D9FE2340 340000C9
	v_mfma_scale_f32_16x16x128_f8f6f4 a[12:15], v[148:151], v[20:23], a[12:15], v192, v184 op_sel_hi:[0,0,0] cbsz:4 blgp:4// 00000000453C: D3AC7800 180371C0 D3AD8C0C 84322994
	ds_read_b32 v186, v204 offset:2560                         // 00000000454C: D86C0A00 BA0000CC
	s_waitcnt lgkmcnt(5)                                       // 000000004554: BF8CC57F
	v_mfma_scale_f32_16x16x128_f8f6f4 a[48:51], v[136:139], v[24:27], a[48:51], v192, v185 op_sel_hi:[0,0,0] cbsz:4 blgp:4// 000000004558: D3AC6000 000373C0 D3AD8C30 84C23188
	ds_read_b128 v[56:59], v201 offset:12672                   // 000000004568: D9FE3180 380000C9
	v_mfma_scale_f32_16x16x128_f8f6f4 a[52:55], v[136:139], v[28:31], a[52:55], v192, v185 op_sel_hi:[0,0,0] cbsz:4 blgp:4// 000000004570: D3AC7000 000373C0 D3AD8C34 84D23988
	s_add_u32 m0, 0, s64                                       // 000000004580: 807C4080
	buffer_load_dwordx4 v195, s[12:15], 0 offen lds            // 000000004584: E05D1000 800300C3
	v_mfma_scale_f32_16x16x128_f8f6f4 a[56:59], v[140:143], v[24:27], a[56:59], v192, v185 op_sel_hi:[0,0,0] cbsz:4 blgp:4// 00000000458C: D3AC6800 000373C0 D3AD8C38 84E2318C
	ds_read_b128 v[64:67], v201 offset:12736                   // 00000000459C: D9FE31C0 400000C9
	v_mfma_scale_f32_16x16x128_f8f6f4 a[60:63], v[140:143], v[28:31], a[60:63], v192, v185 op_sel_hi:[0,0,0] cbsz:4 blgp:4// 0000000045A4: D3AC7800 000373C0 D3AD8C3C 84F2398C
	v_mfma_scale_f32_16x16x128_f8f6f4 a[48:51], v[144:147], v[32:35], a[48:51], v192, v185 op_sel_hi:[0,0,0] cbsz:4 blgp:4// 0000000045B4: D3AC6000 180373C0 D3AD8C30 84C24190
	ds_read_b128 v[60:63], v201 offset:13184                   // 0000000045C4: D9FE3380 3C0000C9
	v_mfma_scale_f32_16x16x128_f8f6f4 a[52:55], v[144:147], v[36:39], a[52:55], v192, v185 op_sel_hi:[0,0,0] cbsz:4 blgp:4// 0000000045CC: D3AC7000 180373C0 D3AD8C34 84D24990
	s_add_u32 m0, 0x1080, s64                                  // 0000000045DC: 807C40FF 00001080
	buffer_load_dwordx4 v196, s[12:15], 0 offen lds            // 0000000045E4: E05D1000 800300C4
	v_mfma_scale_f32_16x16x128_f8f6f4 a[56:59], v[148:151], v[32:35], a[56:59], v192, v185 op_sel_hi:[0,0,0] cbsz:4 blgp:4// 0000000045EC: D3AC6800 180373C0 D3AD8C38 84E24194
	ds_read_b128 v[68:71], v201 offset:13248                   // 0000000045FC: D9FE33C0 440000C9
	v_mfma_scale_f32_16x16x128_f8f6f4 a[60:63], v[148:151], v[36:39], a[60:63], v192, v185 op_sel_hi:[0,0,0] cbsz:4 blgp:4// 000000004604: D3AC7800 180373C0 D3AD8C3C 84F24994
	ds_read_b32 v187, v204 offset:2816                         // 000000004614: D86C0B00 BB0000CC
	s_waitcnt lgkmcnt(5)                                       // 00000000461C: BF8CC57F
	v_mfma_scale_f32_16x16x128_f8f6f4 a[96:99], v[136:139], v[40:43], a[96:99], v192, v186 op_sel_hi:[0,0,0] cbsz:4 blgp:4// 000000004620: D3AC6000 000375C0 D3AD8C60 85825188
	ds_read_b128 v[72:75], v201 offset:16896                   // 000000004630: D9FE4200 480000C9
	v_mfma_scale_f32_16x16x128_f8f6f4 a[100:103], v[136:139], v[44:47], a[100:103], v192, v186 op_sel_hi:[0,0,0] cbsz:4 blgp:4// 000000004638: D3AC7000 000375C0 D3AD8C64 85925988
	buffer_load_dwordx4 v[88:91], v205, s[16:19], 0 offen      // 000000004648: E05C1000 800458CD
	v_mfma_scale_f32_16x16x128_f8f6f4 a[104:107], v[140:143], v[40:43], a[104:107], v192, v186 op_sel_hi:[0,0,0] cbsz:4 blgp:4// 000000004650: D3AC6800 000375C0 D3AD8C68 85A2518C
	ds_read_b128 v[80:83], v201 offset:16960                   // 000000004660: D9FE4240 500000C9
	v_mfma_scale_f32_16x16x128_f8f6f4 a[108:111], v[140:143], v[44:47], a[108:111], v192, v186 op_sel_hi:[0,0,0] cbsz:4 blgp:4// 000000004668: D3AC7800 000375C0 D3AD8C6C 85B2598C
	v_mfma_scale_f32_16x16x128_f8f6f4 a[96:99], v[144:147], v[48:51], a[96:99], v192, v186 op_sel_hi:[0,0,0] cbsz:4 blgp:4// 000000004678: D3AC6000 180375C0 D3AD8C60 85826190
	ds_read_b128 v[76:79], v201 offset:17408                   // 000000004688: D9FE4400 4C0000C9
	v_mfma_scale_f32_16x16x128_f8f6f4 a[100:103], v[144:147], v[52:55], a[100:103], v192, v186 op_sel_hi:[0,0,0] cbsz:4 blgp:4// 000000004690: D3AC7000 180375C0 D3AD8C64 85926990
	buffer_load_dwordx4 v[92:95], v206, s[16:19], 0 offen      // 0000000046A0: E05C1000 80045CCE
	v_mfma_scale_f32_16x16x128_f8f6f4 a[104:107], v[148:151], v[48:51], a[104:107], v192, v186 op_sel_hi:[0,0,0] cbsz:4 blgp:4// 0000000046A8: D3AC6800 180375C0 D3AD8C68 85A26194
	ds_read_b128 v[84:87], v201 offset:17472                   // 0000000046B8: D9FE4440 540000C9
	v_mfma_scale_f32_16x16x128_f8f6f4 a[108:111], v[148:151], v[52:55], a[108:111], v192, v186 op_sel_hi:[0,0,0] cbsz:4 blgp:4// 0000000046C0: D3AC7800 180375C0 D3AD8C6C 85B26994
	ds_read_b32 v188, v204 offset:3072                         // 0000000046D0: D86C0C00 BC0000CC
	s_waitcnt lgkmcnt(5)                                       // 0000000046D8: BF8CC57F
	v_mfma_scale_f32_16x16x128_f8f6f4 a[144:147], v[136:139], v[56:59], a[144:147], v192, v187 op_sel_hi:[0,0,0] cbsz:4 blgp:4// 0000000046DC: D3AC6000 000377C0 D3AD8C90 86427188
	v_mfma_scale_f32_16x16x128_f8f6f4 a[148:151], v[136:139], v[60:63], a[148:151], v192, v187 op_sel_hi:[0,0,0] cbsz:4 blgp:4// 0000000046EC: D3AC7000 000377C0 D3AD8C94 86527988
	buffer_load_dwordx4 v[96:99], v205, s[16:19], 0 offen offset:1024// 0000000046FC: E05C1400 800460CD
	v_mfma_scale_f32_16x16x128_f8f6f4 a[152:155], v[140:143], v[56:59], a[152:155], v192, v187 op_sel_hi:[0,0,0] cbsz:4 blgp:4// 000000004704: D3AC6800 000377C0 D3AD8C98 8662718C
	v_mfma_scale_f32_16x16x128_f8f6f4 a[156:159], v[140:143], v[60:63], a[156:159], v192, v187 op_sel_hi:[0,0,0] cbsz:4 blgp:4// 000000004714: D3AC7800 000377C0 D3AD8C9C 8672798C
	v_mfma_scale_f32_16x16x128_f8f6f4 a[144:147], v[144:147], v[64:67], a[144:147], v192, v187 op_sel_hi:[0,0,0] cbsz:4 blgp:4// 000000004724: D3AC6000 180377C0 D3AD8C90 86428190
	v_mfma_scale_f32_16x16x128_f8f6f4 a[148:151], v[144:147], v[68:71], a[148:151], v192, v187 op_sel_hi:[0,0,0] cbsz:4 blgp:4// 000000004734: D3AC7000 180377C0 D3AD8C94 86528990
	buffer_load_dwordx4 v[100:103], v206, s[16:19], 0 offen offset:1024// 000000004744: E05C1400 800464CE
	v_mfma_scale_f32_16x16x128_f8f6f4 a[152:155], v[148:151], v[64:67], a[152:155], v192, v187 op_sel_hi:[0,0,0] cbsz:4 blgp:4// 00000000474C: D3AC6800 180377C0 D3AD8C98 86628194
	v_mfma_scale_f32_16x16x128_f8f6f4 a[156:159], v[148:151], v[68:71], a[156:159], v192, v187 op_sel_hi:[0,0,0] cbsz:4 blgp:4// 00000000475C: D3AC7800 180377C0 D3AD8C9C 86728994
	s_waitcnt lgkmcnt(0)                                       // 00000000476C: BF8CC07F
	v_mfma_scale_f32_16x16x128_f8f6f4 a[192:195], v[136:139], v[72:75], a[192:195], v192, v188 op_sel_hi:[0,0,0] cbsz:4 blgp:4// 000000004770: D3AC6000 000379C0 D3AD8CC0 87029188
	v_mfma_scale_f32_16x16x128_f8f6f4 a[196:199], v[136:139], v[76:79], a[196:199], v192, v188 op_sel_hi:[0,0,0] cbsz:4 blgp:4// 000000004780: D3AC7000 000379C0 D3AD8CC4 87129988
	buffer_load_dword v189, v211, s[24:27], 0 offen            // 000000004790: E0501000 8006BDD3
	v_mfma_scale_f32_16x16x128_f8f6f4 a[200:203], v[140:143], v[72:75], a[200:203], v192, v188 op_sel_hi:[0,0,0] cbsz:4 blgp:4// 000000004798: D3AC6800 000379C0 D3AD8CC8 8722918C
	v_mfma_scale_f32_16x16x128_f8f6f4 a[204:207], v[140:143], v[76:79], a[204:207], v192, v188 op_sel_hi:[0,0,0] cbsz:4 blgp:4// 0000000047A8: D3AC7800 000379C0 D3AD8CCC 8732998C
	v_mfma_scale_f32_16x16x128_f8f6f4 a[192:195], v[144:147], v[80:83], a[192:195], v192, v188 op_sel_hi:[0,0,0] cbsz:4 blgp:4// 0000000047B8: D3AC6000 180379C0 D3AD8CC0 8702A190
	v_mfma_scale_f32_16x16x128_f8f6f4 a[196:199], v[144:147], v[84:87], a[196:199], v192, v188 op_sel_hi:[0,0,0] cbsz:4 blgp:4// 0000000047C8: D3AC7000 180379C0 D3AD8CC4 8712A990
	v_mfma_scale_f32_16x16x128_f8f6f4 a[200:203], v[148:151], v[80:83], a[200:203], v192, v188 op_sel_hi:[0,0,0] cbsz:4 blgp:4// 0000000047D8: D3AC6800 180379C0 D3AD8CC8 8722A194
	v_mfma_scale_f32_16x16x128_f8f6f4 a[204:207], v[148:151], v[84:87], a[204:207], v192, v188 op_sel_hi:[0,0,0] cbsz:4 blgp:4// 0000000047E8: D3AC7800 180379C0 D3AD8CCC 8732A994
	s_waitcnt vmcnt(14)                                        // 0000000047F8: BF8C0F7E
	v_mfma_scale_f32_16x16x128_f8f6f4 a[16:19], v[152:155], v[8:11], a[16:19], v193, v184 op_sel_hi:[0,0,0] cbsz:4 blgp:4// 0000000047FC: D3AC6000 000371C1 D3AD8C10 84421198
	v_mfma_scale_f32_16x16x128_f8f6f4 a[20:23], v[152:155], v[12:15], a[20:23], v193, v184 op_sel_hi:[0,0,0] cbsz:4 blgp:4// 00000000480C: D3AC7000 000371C1 D3AD8C14 84521998
	s_add_u32 m0, 0x2100, s64                                  // 00000000481C: 807C40FF 00002100
	buffer_load_dwordx4 v197, s[12:15], 0 offen lds            // 000000004824: E05D1000 800300C5
	v_mfma_scale_f32_16x16x128_f8f6f4 a[24:27], v[156:159], v[8:11], a[24:27], v193, v184 op_sel_hi:[0,0,0] cbsz:4 blgp:4// 00000000482C: D3AC6800 000371C1 D3AD8C18 8462119C
	v_mfma_scale_f32_16x16x128_f8f6f4 a[28:31], v[156:159], v[12:15], a[28:31], v193, v184 op_sel_hi:[0,0,0] cbsz:4 blgp:4// 00000000483C: D3AC7800 000371C1 D3AD8C1C 8472199C
	v_mfma_scale_f32_16x16x128_f8f6f4 a[16:19], v[160:163], v[16:19], a[16:19], v193, v184 op_sel_hi:[0,0,0] cbsz:4 blgp:4// 00000000484C: D3AC6000 180371C1 D3AD8C10 844221A0
	v_mfma_scale_f32_16x16x128_f8f6f4 a[20:23], v[160:163], v[20:23], a[20:23], v193, v184 op_sel_hi:[0,0,0] cbsz:4 blgp:4// 00000000485C: D3AC7000 180371C1 D3AD8C14 845229A0
	s_add_u32 m0, 0x3180, s64                                  // 00000000486C: 807C40FF 00003180
	buffer_load_dwordx4 v198, s[12:15], 0 offen lds            // 000000004874: E05D1000 800300C6
	v_mfma_scale_f32_16x16x128_f8f6f4 a[24:27], v[164:167], v[16:19], a[24:27], v193, v184 op_sel_hi:[0,0,0] cbsz:4 blgp:4// 00000000487C: D3AC6800 180371C1 D3AD8C18 846221A4
	v_mfma_scale_f32_16x16x128_f8f6f4 a[28:31], v[164:167], v[20:23], a[28:31], v193, v184 op_sel_hi:[0,0,0] cbsz:4 blgp:4// 00000000488C: D3AC7800 180371C1 D3AD8C1C 847229A4
	v_mfma_scale_f32_16x16x128_f8f6f4 a[64:67], v[152:155], v[24:27], a[64:67], v193, v185 op_sel_hi:[0,0,0] cbsz:4 blgp:4// 00000000489C: D3AC6000 000373C1 D3AD8C40 85023198
	v_mfma_scale_f32_16x16x128_f8f6f4 a[68:71], v[152:155], v[28:31], a[68:71], v193, v185 op_sel_hi:[0,0,0] cbsz:4 blgp:4// 0000000048AC: D3AC7000 000373C1 D3AD8C44 85123998
	s_add_u32 m0, 0x4200, s64                                  // 0000000048BC: 807C40FF 00004200
	buffer_load_dwordx4 v199, s[12:15], 0 offen lds            // 0000000048C4: E05D1000 800300C7
	v_mfma_scale_f32_16x16x128_f8f6f4 a[72:75], v[156:159], v[24:27], a[72:75], v193, v185 op_sel_hi:[0,0,0] cbsz:4 blgp:4// 0000000048CC: D3AC6800 000373C1 D3AD8C48 8522319C
	s_add_u32 s62, 0x200, s60                                  // 0000000048DC: 803E3CFF 00000200
	s_cmp_lt_u32 s62, s61                                      // 0000000048E4: BF0A3D3E
	v_mfma_scale_f32_16x16x128_f8f6f4 a[76:79], v[156:159], v[28:31], a[76:79], v193, v185 op_sel_hi:[0,0,0] cbsz:4 blgp:4// 0000000048E8: D3AC7800 000373C1 D3AD8C4C 8532399C
	s_cselect_b32 s66, s66, 0                                  // 0000000048F8: 85428042
	s_cselect_b32 s68, s68, 0                                  // 0000000048FC: 85448044
	v_mfma_scale_f32_16x16x128_f8f6f4 a[64:67], v[160:163], v[32:35], a[64:67], v193, v185 op_sel_hi:[0,0,0] cbsz:4 blgp:4// 000000004900: D3AC6000 180373C1 D3AD8C40 850241A0
	s_add_u32 s12, s12, s66                                    // 000000004910: 800C420C
	s_addc_u32 s13, 0, s13                                     // 000000004914: 820D0D80
	v_mfma_scale_f32_16x16x128_f8f6f4 a[68:71], v[160:163], v[36:39], a[68:71], v193, v185 op_sel_hi:[0,0,0] cbsz:4 blgp:4// 000000004918: D3AC7000 180373C1 D3AD8C44 851249A0
	s_sub_u32 s14, s14, s66                                    // 000000004928: 808E420E
	buffer_load_dwordx4 v[104:107], v207, s[16:19], 0 offen    // 00000000492C: E05C1000 800468CF
	v_mfma_scale_f32_16x16x128_f8f6f4 a[72:75], v[164:167], v[32:35], a[72:75], v193, v185 op_sel_hi:[0,0,0] cbsz:4 blgp:4// 000000004934: D3AC6800 180373C1 D3AD8C48 852241A4
	s_add_u32 s20, s20, s68                                    // 000000004944: 80144414
	s_addc_u32 s21, 0, s21                                     // 000000004948: 82151580
	v_mfma_scale_f32_16x16x128_f8f6f4 a[76:79], v[164:167], v[36:39], a[76:79], v193, v185 op_sel_hi:[0,0,0] cbsz:4 blgp:4// 00000000494C: D3AC7800 180373C1 D3AD8C4C 853249A4
	s_sub_u32 s22, s22, s68                                    // 00000000495C: 80964416
	v_mfma_scale_f32_16x16x128_f8f6f4 a[112:115], v[152:155], v[40:43], a[112:115], v193, v186 op_sel_hi:[0,0,0] cbsz:4 blgp:4// 000000004960: D3AC6000 000375C1 D3AD8C70 85C25198
	v_mfma_scale_f32_16x16x128_f8f6f4 a[116:119], v[152:155], v[44:47], a[116:119], v193, v186 op_sel_hi:[0,0,0] cbsz:4 blgp:4// 000000004970: D3AC7000 000375C1 D3AD8C74 85D25998
	buffer_load_dwordx4 v[108:111], v208, s[16:19], 0 offen    // 000000004980: E05C1000 80046CD0
	v_mfma_scale_f32_16x16x128_f8f6f4 a[120:123], v[156:159], v[40:43], a[120:123], v193, v186 op_sel_hi:[0,0,0] cbsz:4 blgp:4// 000000004988: D3AC6800 000375C1 D3AD8C78 85E2519C
	v_mfma_scale_f32_16x16x128_f8f6f4 a[124:127], v[156:159], v[44:47], a[124:127], v193, v186 op_sel_hi:[0,0,0] cbsz:4 blgp:4// 000000004998: D3AC7800 000375C1 D3AD8C7C 85F2599C
	v_mfma_scale_f32_16x16x128_f8f6f4 a[112:115], v[160:163], v[48:51], a[112:115], v193, v186 op_sel_hi:[0,0,0] cbsz:4 blgp:4// 0000000049A8: D3AC6000 180375C1 D3AD8C70 85C261A0
	v_mfma_scale_f32_16x16x128_f8f6f4 a[116:119], v[160:163], v[52:55], a[116:119], v193, v186 op_sel_hi:[0,0,0] cbsz:4 blgp:4// 0000000049B8: D3AC7000 180375C1 D3AD8C74 85D269A0
	buffer_load_dwordx4 v[112:115], v207, s[16:19], 0 offen offset:1024// 0000000049C8: E05C1400 800470CF
	v_mfma_scale_f32_16x16x128_f8f6f4 a[120:123], v[164:167], v[48:51], a[120:123], v193, v186 op_sel_hi:[0,0,0] cbsz:4 blgp:4// 0000000049D0: D3AC6800 180375C1 D3AD8C78 85E261A4
	v_mfma_scale_f32_16x16x128_f8f6f4 a[124:127], v[164:167], v[52:55], a[124:127], v193, v186 op_sel_hi:[0,0,0] cbsz:4 blgp:4// 0000000049E0: D3AC7800 180375C1 D3AD8C7C 85F269A4
	v_mfma_scale_f32_16x16x128_f8f6f4 a[160:163], v[152:155], v[56:59], a[160:163], v193, v187 op_sel_hi:[0,0,0] cbsz:4 blgp:4// 0000000049F0: D3AC6000 000377C1 D3AD8CA0 86827198
	v_mfma_scale_f32_16x16x128_f8f6f4 a[164:167], v[152:155], v[60:63], a[164:167], v193, v187 op_sel_hi:[0,0,0] cbsz:4 blgp:4// 000000004A00: D3AC7000 000377C1 D3AD8CA4 86927998
	buffer_load_dwordx4 v[116:119], v208, s[16:19], 0 offen offset:1024// 000000004A10: E05C1400 800474D0
	v_mfma_scale_f32_16x16x128_f8f6f4 a[168:171], v[156:159], v[56:59], a[168:171], v193, v187 op_sel_hi:[0,0,0] cbsz:4 blgp:4// 000000004A18: D3AC6800 000377C1 D3AD8CA8 86A2719C
	v_mfma_scale_f32_16x16x128_f8f6f4 a[172:175], v[156:159], v[60:63], a[172:175], v193, v187 op_sel_hi:[0,0,0] cbsz:4 blgp:4// 000000004A28: D3AC7800 000377C1 D3AD8CAC 86B2799C
	v_mfma_scale_f32_16x16x128_f8f6f4 a[160:163], v[160:163], v[64:67], a[160:163], v193, v187 op_sel_hi:[0,0,0] cbsz:4 blgp:4// 000000004A38: D3AC6000 180377C1 D3AD8CA0 868281A0
	v_mfma_scale_f32_16x16x128_f8f6f4 a[164:167], v[160:163], v[68:71], a[164:167], v193, v187 op_sel_hi:[0,0,0] cbsz:4 blgp:4// 000000004A48: D3AC7000 180377C1 D3AD8CA4 869289A0
	buffer_load_dword v190, v212, s[24:27], 0 offen            // 000000004A58: E0501000 8006BED4
	v_mfma_scale_f32_16x16x128_f8f6f4 a[168:171], v[164:167], v[64:67], a[168:171], v193, v187 op_sel_hi:[0,0,0] cbsz:4 blgp:4// 000000004A60: D3AC6800 180377C1 D3AD8CA8 86A281A4
	v_mfma_scale_f32_16x16x128_f8f6f4 a[172:175], v[164:167], v[68:71], a[172:175], v193, v187 op_sel_hi:[0,0,0] cbsz:4 blgp:4// 000000004A70: D3AC7800 180377C1 D3AD8CAC 86B289A4
	v_mfma_scale_f32_16x16x128_f8f6f4 a[208:211], v[152:155], v[72:75], a[208:211], v193, v188 op_sel_hi:[0,0,0] cbsz:4 blgp:4// 000000004A80: D3AC6000 000379C1 D3AD8CD0 87429198
	v_mfma_scale_f32_16x16x128_f8f6f4 a[212:215], v[152:155], v[76:79], a[212:215], v193, v188 op_sel_hi:[0,0,0] cbsz:4 blgp:4// 000000004A90: D3AC7000 000379C1 D3AD8CD4 87529998
	v_mfma_scale_f32_16x16x128_f8f6f4 a[216:219], v[156:159], v[72:75], a[216:219], v193, v188 op_sel_hi:[0,0,0] cbsz:4 blgp:4// 000000004AA0: D3AC6800 000379C1 D3AD8CD8 8762919C
	v_mfma_scale_f32_16x16x128_f8f6f4 a[220:223], v[156:159], v[76:79], a[220:223], v193, v188 op_sel_hi:[0,0,0] cbsz:4 blgp:4// 000000004AB0: D3AC7800 000379C1 D3AD8CDC 8772999C
	v_mfma_scale_f32_16x16x128_f8f6f4 a[208:211], v[160:163], v[80:83], a[208:211], v193, v188 op_sel_hi:[0,0,0] cbsz:4 blgp:4// 000000004AC0: D3AC6000 180379C1 D3AD8CD0 8742A1A0
	v_mfma_scale_f32_16x16x128_f8f6f4 a[212:215], v[160:163], v[84:87], a[212:215], v193, v188 op_sel_hi:[0,0,0] cbsz:4 blgp:4// 000000004AD0: D3AC7000 180379C1 D3AD8CD4 8752A9A0
	v_mfma_scale_f32_16x16x128_f8f6f4 a[216:219], v[164:167], v[80:83], a[216:219], v193, v188 op_sel_hi:[0,0,0] cbsz:4 blgp:4// 000000004AE0: D3AC6800 180379C1 D3AD8CD8 8762A1A4
	v_mfma_scale_f32_16x16x128_f8f6f4 a[220:223], v[164:167], v[84:87], a[220:223], v193, v188 op_sel_hi:[0,0,0] cbsz:4 blgp:4// 000000004AF0: D3AC7800 180379C1 D3AD8CDC 8772A9A4
	s_waitcnt vmcnt(17)                                        // 000000004B00: BF8C4F71
	v_mfma_scale_f32_16x16x128_f8f6f4 a[32:35], v[168:171], v[8:11], a[32:35], v194, v184 op_sel_hi:[0,0,0] cbsz:4 blgp:4// 000000004B04: D3AC6000 000371C2 D3AD8C20 848211A8
	s_add_u32 s63, 0x200, s60                                  // 000000004B14: 803F3CFF 00000200
	s_cmp_lt_u32 s63, s61                                      // 000000004B1C: BF0A3D3F
	v_mfma_scale_f32_16x16x128_f8f6f4 a[36:39], v[168:171], v[12:15], a[36:39], v194, v184 op_sel_hi:[0,0,0] cbsz:4 blgp:4// 000000004B20: D3AC7000 000371C2 D3AD8C24 849219A8
	s_cselect_b32 s67, s67, 0                                  // 000000004B30: 85438043
	buffer_load_dwordx4 v[120:123], v209, s[16:19], 0 offen    // 000000004B34: E05C1000 800478D1
	v_mfma_scale_f32_16x16x128_f8f6f4 a[40:43], v[172:175], v[8:11], a[40:43], v194, v184 op_sel_hi:[0,0,0] cbsz:4 blgp:4// 000000004B3C: D3AC6800 000371C2 D3AD8C28 84A211AC
	s_cselect_b32 s69, s69, 0                                  // 000000004B4C: 85458045
	v_mfma_scale_f32_16x16x128_f8f6f4 a[44:47], v[172:175], v[12:15], a[44:47], v194, v184 op_sel_hi:[0,0,0] cbsz:4 blgp:4// 000000004B50: D3AC7800 000371C2 D3AD8C2C 84B219AC
	v_mfma_scale_f32_16x16x128_f8f6f4 a[32:35], v[176:179], v[16:19], a[32:35], v194, v184 op_sel_hi:[0,0,0] cbsz:4 blgp:4// 000000004B60: D3AC6000 180371C2 D3AD8C20 848221B0
	v_mfma_scale_f32_16x16x128_f8f6f4 a[36:39], v[176:179], v[20:23], a[36:39], v194, v184 op_sel_hi:[0,0,0] cbsz:4 blgp:4// 000000004B70: D3AC7000 180371C2 D3AD8C24 849229B0
	buffer_load_dwordx4 v[124:127], v210, s[16:19], 0 offen    // 000000004B80: E05C1000 80047CD2
	v_mfma_scale_f32_16x16x128_f8f6f4 a[40:43], v[180:183], v[16:19], a[40:43], v194, v184 op_sel_hi:[0,0,0] cbsz:4 blgp:4// 000000004B88: D3AC6800 180371C2 D3AD8C28 84A221B4
	v_mfma_scale_f32_16x16x128_f8f6f4 a[44:47], v[180:183], v[20:23], a[44:47], v194, v184 op_sel_hi:[0,0,0] cbsz:4 blgp:4// 000000004B98: D3AC7800 180371C2 D3AD8C2C 84B229B4
	v_mfma_scale_f32_16x16x128_f8f6f4 a[80:83], v[168:171], v[24:27], a[80:83], v194, v185 op_sel_hi:[0,0,0] cbsz:4 blgp:4// 000000004BA8: D3AC6000 000373C2 D3AD8C50 854231A8
	v_mfma_scale_f32_16x16x128_f8f6f4 a[84:87], v[168:171], v[28:31], a[84:87], v194, v185 op_sel_hi:[0,0,0] cbsz:4 blgp:4// 000000004BB8: D3AC7000 000373C2 D3AD8C54 855239A8
	buffer_load_dwordx4 v[128:131], v209, s[16:19], 0 offen offset:1024// 000000004BC8: E05C1400 800480D1
	v_mfma_scale_f32_16x16x128_f8f6f4 a[88:91], v[172:175], v[24:27], a[88:91], v194, v185 op_sel_hi:[0,0,0] cbsz:4 blgp:4// 000000004BD0: D3AC6800 000373C2 D3AD8C58 856231AC
	v_mfma_scale_f32_16x16x128_f8f6f4 a[92:95], v[172:175], v[28:31], a[92:95], v194, v185 op_sel_hi:[0,0,0] cbsz:4 blgp:4// 000000004BE0: D3AC7800 000373C2 D3AD8C5C 857239AC
	v_mfma_scale_f32_16x16x128_f8f6f4 a[80:83], v[176:179], v[32:35], a[80:83], v194, v185 op_sel_hi:[0,0,0] cbsz:4 blgp:4// 000000004BF0: D3AC6000 180373C2 D3AD8C50 854241B0
	v_mfma_scale_f32_16x16x128_f8f6f4 a[84:87], v[176:179], v[36:39], a[84:87], v194, v185 op_sel_hi:[0,0,0] cbsz:4 blgp:4// 000000004C00: D3AC7000 180373C2 D3AD8C54 855249B0
	buffer_load_dwordx4 v[132:135], v210, s[16:19], 0 offen offset:1024// 000000004C10: E05C1400 800484D2
	v_mfma_scale_f32_16x16x128_f8f6f4 a[88:91], v[180:183], v[32:35], a[88:91], v194, v185 op_sel_hi:[0,0,0] cbsz:4 blgp:4// 000000004C18: D3AC4800 180373C2 D3AD8C58 856241B4
	v_mfma_scale_f32_16x16x128_f8f6f4 a[92:95], v[180:183], v[36:39], a[92:95], v194, v185 op_sel_hi:[0,0,0] cbsz:4 blgp:4// 000000004C28: D3AC7800 180373C2 D3AD8C5C 857249B4
	v_mfma_scale_f32_16x16x128_f8f6f4 a[128:131], v[168:171], v[40:43], a[128:131], v194, v186 op_sel_hi:[0,0,0] cbsz:4 blgp:4// 000000004C38: D3AC6000 000375C2 D3AD8C80 860251A8
	v_mfma_scale_f32_16x16x128_f8f6f4 a[132:135], v[168:171], v[44:47], a[132:135], v194, v186 op_sel_hi:[0,0,0] cbsz:4 blgp:4// 000000004C48: D3AC7000 000375C2 D3AD8C84 861259A8
	buffer_load_dword v191, v213, s[24:27], 0 offen            // 000000004C58: E0501000 8006BFD5
	v_mfma_scale_f32_16x16x128_f8f6f4 a[136:139], v[172:175], v[40:43], a[136:139], v194, v186 op_sel_hi:[0,0,0] cbsz:4 blgp:4// 000000004C60: D3AC6800 000375C2 D3AD8C88 862251AC
	s_add_u32 s16, s16, s67                                    // 000000004C70: 80104310
	s_addc_u32 s17, 0, s17                                     // 000000004C74: 82111180
	v_mfma_scale_f32_16x16x128_f8f6f4 a[140:143], v[172:175], v[44:47], a[140:143], v194, v186 op_sel_hi:[0,0,0] cbsz:4 blgp:4// 000000004C78: D3AC7800 000375C2 D3AD8C8C 863259AC
	s_sub_u32 s18, s18, s67                                    // 000000004C88: 80924312
	s_add_u32 s24, s24, s69                                    // 000000004C8C: 80184518
	v_mfma_scale_f32_16x16x128_f8f6f4 a[128:131], v[176:179], v[48:51], a[128:131], v194, v186 op_sel_hi:[0,0,0] cbsz:4 blgp:4// 000000004C90: D3AC6000 180375C2 D3AD8C80 860261B0
	s_addc_u32 s25, 0, s25                                     // 000000004CA0: 82191980
	s_sub_u32 s26, s26, s69                                    // 000000004CA4: 809A451A
	v_mfma_scale_f32_16x16x128_f8f6f4 a[132:135], v[176:179], v[52:55], a[132:135], v194, v186 op_sel_hi:[0,0,0] cbsz:4 blgp:4// 000000004CA8: D3AC7000 180375C2 D3AD8C84 861269B0
	s_addk_i32 s60, 0x100                                      // 000000004CB8: B73C0100
	s_cmp_lt_i32 s60, s61                                      // 000000004CBC: BF043D3C
	v_mfma_scale_f32_16x16x128_f8f6f4 a[136:139], v[180:183], v[48:51], a[136:139], v194, v186 op_sel_hi:[0,0,0] cbsz:4 blgp:4// 000000004CC0: D3AC6800 180375C2 D3AD8C88 862261B4
	v_mfma_scale_f32_16x16x128_f8f6f4 a[140:143], v[180:183], v[52:55], a[140:143], v194, v186 op_sel_hi:[0,0,0] cbsz:4 blgp:4// 000000004CD0: D3AC7800 180375C2 D3AD8C8C 863269B4
	s_waitcnt vmcnt(18)                                        // 000000004CE0: BF8C4F72
	s_barrier                                                  // 000000004CE4: BF8A0000
	v_mfma_scale_f32_16x16x128_f8f6f4 a[176:179], v[168:171], v[56:59], a[176:179], v194, v187 op_sel_hi:[0,0,0] cbsz:4 blgp:4// 000000004CE8: D3AC6000 000377C2 D3AD8CB0 86C271A8
	ds_read_b128 v[8:11], v200                                 // 000000004CF8: D9FE0000 080000C8
	v_mfma_scale_f32_16x16x128_f8f6f4 a[180:183], v[168:171], v[60:63], a[180:183], v194, v187 op_sel_hi:[0,0,0] cbsz:4 blgp:4// 000000004D00: D3AC7000 000377C2 D3AD8CB4 86D279A8
	v_mfma_scale_f32_16x16x128_f8f6f4 a[184:187], v[172:175], v[56:59], a[184:187], v194, v187 op_sel_hi:[0,0,0] cbsz:4 blgp:4// 000000004D10: D3AC6800 000377C2 D3AD8CB8 86E271AC
	ds_read_b128 v[16:19], v200 offset:64                      // 000000004D20: D9FE0040 100000C8
	v_mfma_scale_f32_16x16x128_f8f6f4 a[188:191], v[172:175], v[60:63], a[188:191], v194, v187 op_sel_hi:[0,0,0] cbsz:4 blgp:4// 000000004D28: D3AC7800 000377C2 D3AD8CBC 86F279AC
	v_mfma_scale_f32_16x16x128_f8f6f4 a[176:179], v[176:179], v[64:67], a[176:179], v194, v187 op_sel_hi:[0,0,0] cbsz:4 blgp:4// 000000004D38: D3AC6000 180377C2 D3AD8CB0 86C281B0
	ds_read_b128 v[12:15], v200 offset:512                     // 000000004D48: D9FE0200 0C0000C8
	v_mfma_scale_f32_16x16x128_f8f6f4 a[180:183], v[176:179], v[68:71], a[180:183], v194, v187 op_sel_hi:[0,0,0] cbsz:4 blgp:4// 000000004D50: D3AC7000 180377C2 D3AD8CB4 86D289B0
	v_mfma_scale_f32_16x16x128_f8f6f4 a[184:187], v[180:183], v[64:67], a[184:187], v194, v187 op_sel_hi:[0,0,0] cbsz:4 blgp:4// 000000004D60: D3AC6800 180377C2 D3AD8CB8 86E281B4
	ds_read_b128 v[20:23], v200 offset:576                     // 000000004D70: D9FE0240 140000C8
	v_mfma_scale_f32_16x16x128_f8f6f4 a[188:191], v[180:183], v[68:71], a[188:191], v194, v187 op_sel_hi:[0,0,0] cbsz:4 blgp:4// 000000004D78: D3AC7800 180377C2 D3AD8CBC 86F289B4
	ds_read_b32 v184, v204                                     // 000000004D88: D86C0000 B80000CC
	v_mfma_scale_f32_16x16x128_f8f6f4 a[224:227], v[168:171], v[72:75], a[224:227], v194, v188 op_sel_hi:[0,0,0] cbsz:4 blgp:4// 000000004D90: D3AC6000 000379C2 D3AD8CE0 878291A8
	ds_read_b128 v[24:27], v200 offset:4224                    // 000000004DA0: D9FE1080 180000C8
	v_mfma_scale_f32_16x16x128_f8f6f4 a[228:231], v[168:171], v[76:79], a[228:231], v194, v188 op_sel_hi:[0,0,0] cbsz:4 blgp:4// 000000004DA8: D3AC7000 000379C2 D3AD8CE4 879299A8
	v_mfma_scale_f32_16x16x128_f8f6f4 a[232:235], v[172:175], v[72:75], a[232:235], v194, v188 op_sel_hi:[0,0,0] cbsz:4 blgp:4// 000000004DB8: D3AC6800 000379C2 D3AD8CE8 87A291AC
	ds_read_b128 v[32:35], v200 offset:4288                    // 000000004DC8: D9FE10C0 200000C8
	v_mfma_scale_f32_16x16x128_f8f6f4 a[236:239], v[172:175], v[76:79], a[236:239], v194, v188 op_sel_hi:[0,0,0] cbsz:4 blgp:4// 000000004DD0: D3AC7800 000379C2 D3AD8CEC 87B299AC
	v_mfma_scale_f32_16x16x128_f8f6f4 a[224:227], v[176:179], v[80:83], a[224:227], v194, v188 op_sel_hi:[0,0,0] cbsz:4 blgp:4// 000000004DE0: D3AC6000 180379C2 D3AD8CE0 8782A1B0
	ds_read_b128 v[28:31], v200 offset:4736                    // 000000004DF0: D9FE1280 1C0000C8
	v_mfma_scale_f32_16x16x128_f8f6f4 a[228:231], v[176:179], v[84:87], a[228:231], v194, v188 op_sel_hi:[0,0,0] cbsz:4 blgp:4// 000000004DF8: D3AC7000 180379C2 D3AD8CE4 8792A9B0
	v_mfma_scale_f32_16x16x128_f8f6f4 a[232:235], v[180:183], v[80:83], a[232:235], v194, v188 op_sel_hi:[0,0,0] cbsz:4 blgp:4// 000000004E08: D3AC6800 180379C2 D3AD8CE8 87A2A1B4
	ds_read_b128 v[36:39], v200 offset:4800                    // 000000004E18: D9FE12C0 240000C8
	v_mfma_scale_f32_16x16x128_f8f6f4 a[236:239], v[180:183], v[84:87], a[236:239], v194, v188 op_sel_hi:[0,0,0] cbsz:4 blgp:4// 000000004E20: D3AC7800 180379C2 D3AD8CEC 87B2A9B4
	ds_read_b32 v185, v204 offset:256                          // 000000004E30: D86C0100 B90000CC
	s_cbranch_scc0 label_0D6D                                  // 000000004E38: BF8404DE
	s_branch label_03B3                                        // 000000004E3C: BF82FB23

0000000000004e40 <label_0890>:
	s_waitcnt vmcnt(10) lgkmcnt(5)                             // 000000004E40: BF8C057A
	s_barrier                                                  // 000000004E44: BF8A0000
	v_mfma_scale_f32_16x16x128_f8f6f4 a[0:3], v[88:91], v[8:11], a[0:3], v189, v184 op_sel_hi:[0,0,0] cbsz:4 blgp:4// 000000004E48: D3AC6000 000371BD D3AD8C00 84021158
	s_add_u32 m0, 0x800, s65                                   // 000000004E58: 807C41FF 00000800
	buffer_load_dword v202, s[20:23], 0 offen lds              // 000000004E60: E0511000 800500CA
	v_mfma_scale_f32_16x16x128_f8f6f4 a[4:7], v[88:91], v[12:15], a[4:7], v189, v184 op_sel_hi:[0,0,0] cbsz:4 blgp:4// 000000004E68: D3AC7000 000371BD D3AD8C04 84121958
	ds_read_b128 v[40:43], v200 offset:8448                    // 000000004E78: D9FE2100 280000C8
	v_mfma_scale_f32_16x16x128_f8f6f4 a[8:11], v[92:95], v[8:11], a[8:11], v189, v184 op_sel_hi:[0,0,0] cbsz:4 blgp:4// 000000004E80: D3AC6800 000371BD D3AD8C08 8422115C
	v_mfma_scale_f32_16x16x128_f8f6f4 a[12:15], v[92:95], v[12:15], a[12:15], v189, v184 op_sel_hi:[0,0,0] cbsz:4 blgp:4// 000000004E90: D3AC7800 000371BD D3AD8C0C 8432195C
	ds_read_b128 v[48:51], v200 offset:8512                    // 000000004EA0: D9FE2140 300000C8
	v_mfma_scale_f32_16x16x128_f8f6f4 a[0:3], v[96:99], v[16:19], a[0:3], v189, v184 op_sel_hi:[0,0,0] cbsz:4 blgp:4// 000000004EA8: D3AC6000 180371BD D3AD8C00 84022160
	s_add_u32 m0, 0xc00, s65                                   // 000000004EB8: 807C41FF 00000C00
	buffer_load_dword v203, s[20:23], 0 offen lds              // 000000004EC0: E0511000 800500CB
	v_mfma_scale_f32_16x16x128_f8f6f4 a[4:7], v[96:99], v[20:23], a[4:7], v189, v184 op_sel_hi:[0,0,0] cbsz:4 blgp:4// 000000004EC8: D3AC7000 180371BD D3AD8C04 84122960
	ds_read_b128 v[44:47], v200 offset:8960                    // 000000004ED8: D9FE2300 2C0000C8
	v_mfma_scale_f32_16x16x128_f8f6f4 a[8:11], v[100:103], v[16:19], a[8:11], v189, v184 op_sel_hi:[0,0,0] cbsz:4 blgp:4// 000000004EE0: D3AC6800 180371BD D3AD8C08 84222164
	v_mfma_scale_f32_16x16x128_f8f6f4 a[12:15], v[100:103], v[20:23], a[12:15], v189, v184 op_sel_hi:[0,0,0] cbsz:4 blgp:4// 000000004EF0: D3AC7800 180371BD D3AD8C0C 84322964
	ds_read_b128 v[52:55], v200 offset:9024                    // 000000004F00: D9FE2340 340000C8
	ds_read_b32 v186, v204 offset:512                          // 000000004F08: D86C0200 BA0000CC
	s_waitcnt lgkmcnt(5)                                       // 000000004F10: BF8CC57F
	v_mfma_scale_f32_16x16x128_f8f6f4 a[48:51], v[88:91], v[24:27], a[48:51], v189, v185 op_sel_hi:[0,0,0] cbsz:4 blgp:4// 000000004F14: D3AC6000 000373BD D3AD8C30 84C23158
	s_add_u32 m0, 0x5280, s64                                  // 000000004F24: 807C40FF 00005280
	buffer_load_dwordx4 v195, s[12:15], 0 offen lds            // 000000004F2C: E05D1000 800300C3
	v_mfma_scale_f32_16x16x128_f8f6f4 a[52:55], v[88:91], v[28:31], a[52:55], v189, v185 op_sel_hi:[0,0,0] cbsz:4 blgp:4// 000000004F34: D3AC7000 000373BD D3AD8C34 84D23958
	ds_read_b128 v[56:59], v200 offset:12672                   // 000000004F44: D9FE3180 380000C8
	v_mfma_scale_f32_16x16x128_f8f6f4 a[56:59], v[92:95], v[24:27], a[56:59], v189, v185 op_sel_hi:[0,0,0] cbsz:4 blgp:4// 000000004F4C: D3AC6800 000373BD D3AD8C38 84E2315C
	v_mfma_scale_f32_16x16x128_f8f6f4 a[60:63], v[92:95], v[28:31], a[60:63], v189, v185 op_sel_hi:[0,0,0] cbsz:4 blgp:4// 000000004F5C: D3AC7800 000373BD D3AD8C3C 84F2395C
	ds_read_b128 v[64:67], v200 offset:12736                   // 000000004F6C: D9FE31C0 400000C8
	v_mfma_scale_f32_16x16x128_f8f6f4 a[48:51], v[96:99], v[32:35], a[48:51], v189, v185 op_sel_hi:[0,0,0] cbsz:4 blgp:4// 000000004F74: D3AC6000 180373BD D3AD8C30 84C24160
	s_add_u32 m0, 0x6300, s64                                  // 000000004F84: 807C40FF 00006300
	buffer_load_dwordx4 v196, s[12:15], 0 offen lds            // 000000004F8C: E05D1000 800300C4
	v_mfma_scale_f32_16x16x128_f8f6f4 a[52:55], v[96:99], v[36:39], a[52:55], v189, v185 op_sel_hi:[0,0,0] cbsz:4 blgp:4// 000000004F94: D3AC7000 180373BD D3AD8C34 84D24960
	ds_read_b128 v[60:63], v200 offset:13184                   // 000000004FA4: D9FE3380 3C0000C8
	v_mfma_scale_f32_16x16x128_f8f6f4 a[56:59], v[100:103], v[32:35], a[56:59], v189, v185 op_sel_hi:[0,0,0] cbsz:4 blgp:4// 000000004FAC: D3AC6800 180373BD D3AD8C38 84E24164
	v_mfma_scale_f32_16x16x128_f8f6f4 a[60:63], v[100:103], v[36:39], a[60:63], v189, v185 op_sel_hi:[0,0,0] cbsz:4 blgp:4// 000000004FBC: D3AC7800 180373BD D3AD8C3C 84F24964
	ds_read_b128 v[68:71], v200 offset:13248                   // 000000004FCC: D9FE33C0 440000C8
	ds_read_b32 v187, v204 offset:768                          // 000000004FD4: D86C0300 BB0000CC
	s_waitcnt lgkmcnt(5)                                       // 000000004FDC: BF8CC57F
	v_mfma_scale_f32_16x16x128_f8f6f4 a[96:99], v[88:91], v[40:43], a[96:99], v189, v186 op_sel_hi:[0,0,0] cbsz:4 blgp:4// 000000004FE0: D3AC6000 000375BD D3AD8C60 85825158
	buffer_load_dwordx4 v[136:139], v205, s[16:19], 0 offen    // 000000004FF0: E05C1000 800488CD
	v_mfma_scale_f32_16x16x128_f8f6f4 a[100:103], v[88:91], v[44:47], a[100:103], v189, v186 op_sel_hi:[0,0,0] cbsz:4 blgp:4// 000000004FF8: D3AC7000 000375BD D3AD8C64 85925958
	ds_read_b128 v[72:75], v200 offset:16896                   // 000000005008: D9FE4200 480000C8
	v_mfma_scale_f32_16x16x128_f8f6f4 a[104:107], v[92:95], v[40:43], a[104:107], v189, v186 op_sel_hi:[0,0,0] cbsz:4 blgp:4// 000000005010: D3AC6800 000375BD D3AD8C68 85A2515C
	v_mfma_scale_f32_16x16x128_f8f6f4 a[108:111], v[92:95], v[44:47], a[108:111], v189, v186 op_sel_hi:[0,0,0] cbsz:4 blgp:4// 000000005020: D3AC7800 000375BD D3AD8C6C 85B2595C
	ds_read_b128 v[80:83], v200 offset:16960                   // 000000005030: D9FE4240 500000C8
	v_mfma_scale_f32_16x16x128_f8f6f4 a[96:99], v[96:99], v[48:51], a[96:99], v189, v186 op_sel_hi:[0,0,0] cbsz:4 blgp:4// 000000005038: D3AC6000 180375BD D3AD8C60 85826160
	buffer_load_dwordx4 v[140:143], v206, s[16:19], 0 offen    // 000000005048: E05C1000 80048CCE
	v_mfma_scale_f32_16x16x128_f8f6f4 a[100:103], v[96:99], v[52:55], a[100:103], v189, v186 op_sel_hi:[0,0,0] cbsz:4 blgp:4// 000000005050: D3AC7000 180375BD D3AD8C64 85926960
	ds_read_b128 v[76:79], v200 offset:17408                   // 000000005060: D9FE4400 4C0000C8
	v_mfma_scale_f32_16x16x128_f8f6f4 a[104:107], v[100:103], v[48:51], a[104:107], v189, v186 op_sel_hi:[0,0,0] cbsz:4 blgp:4// 000000005068: D3AC6800 180375BD D3AD8C68 85A26164
	v_mfma_scale_f32_16x16x128_f8f6f4 a[108:111], v[100:103], v[52:55], a[108:111], v189, v186 op_sel_hi:[0,0,0] cbsz:4 blgp:4// 000000005078: D3AC7800 180375BD D3AD8C6C 85B26964
	ds_read_b128 v[84:87], v200 offset:17472                   // 000000005088: D9FE4440 540000C8
	ds_read_b32 v188, v204 offset:1024                         // 000000005090: D86C0400 BC0000CC
	s_waitcnt lgkmcnt(5)                                       // 000000005098: BF8CC57F
	v_mfma_scale_f32_16x16x128_f8f6f4 a[144:147], v[88:91], v[56:59], a[144:147], v189, v187 op_sel_hi:[0,0,0] cbsz:4 blgp:4// 00000000509C: D3AC6000 000377BD D3AD8C90 86427158
	buffer_load_dwordx4 v[144:147], v205, s[16:19], 0 offen offset:1024// 0000000050AC: E05C1400 800490CD
	v_mfma_scale_f32_16x16x128_f8f6f4 a[148:151], v[88:91], v[60:63], a[148:151], v189, v187 op_sel_hi:[0,0,0] cbsz:4 blgp:4// 0000000050B4: D3AC7000 000377BD D3AD8C94 86527958
	v_mfma_scale_f32_16x16x128_f8f6f4 a[152:155], v[92:95], v[56:59], a[152:155], v189, v187 op_sel_hi:[0,0,0] cbsz:4 blgp:4// 0000000050C4: D3AC6800 000377BD D3AD8C98 8662715C
	v_mfma_scale_f32_16x16x128_f8f6f4 a[156:159], v[92:95], v[60:63], a[156:159], v189, v187 op_sel_hi:[0,0,0] cbsz:4 blgp:4// 0000000050D4: D3AC7800 000377BD D3AD8C9C 8672795C
	v_mfma_scale_f32_16x16x128_f8f6f4 a[144:147], v[96:99], v[64:67], a[144:147], v189, v187 op_sel_hi:[0,0,0] cbsz:4 blgp:4// 0000000050E4: D3AC6000 180377BD D3AD8C90 86428160
	buffer_load_dwordx4 v[148:151], v206, s[16:19], 0 offen offset:1024// 0000000050F4: E05C1400 800494CE
	v_mfma_scale_f32_16x16x128_f8f6f4 a[148:151], v[96:99], v[68:71], a[148:151], v189, v187 op_sel_hi:[0,0,0] cbsz:4 blgp:4// 0000000050FC: D3AC7000 180377BD D3AD8C94 86528960
	v_mfma_scale_f32_16x16x128_f8f6f4 a[152:155], v[100:103], v[64:67], a[152:155], v189, v187 op_sel_hi:[0,0,0] cbsz:4 blgp:4// 00000000510C: D3AC6800 180377BD D3AD8C98 86628164
	v_mfma_scale_f32_16x16x128_f8f6f4 a[156:159], v[100:103], v[68:71], a[156:159], v189, v187 op_sel_hi:[0,0,0] cbsz:4 blgp:4// 00000000511C: D3AC7800 180377BD D3AD8C9C 86728964
	s_waitcnt lgkmcnt(0)                                       // 00000000512C: BF8CC07F
	v_mfma_scale_f32_16x16x128_f8f6f4 a[192:195], v[88:91], v[72:75], a[192:195], v189, v188 op_sel_hi:[0,0,0] cbsz:4 blgp:4// 000000005130: D3AC6000 000379BD D3AD8CC0 87029158
	buffer_load_dword v192, v211, s[24:27], 0 offen            // 000000005140: E0501000 8006C0D3
	v_mfma_scale_f32_16x16x128_f8f6f4 a[196:199], v[88:91], v[76:79], a[196:199], v189, v188 op_sel_hi:[0,0,0] cbsz:4 blgp:4// 000000005148: D3AC7000 000379BD D3AD8CC4 87129958
	v_mfma_scale_f32_16x16x128_f8f6f4 a[200:203], v[92:95], v[72:75], a[200:203], v189, v188 op_sel_hi:[0,0,0] cbsz:4 blgp:4// 000000005158: D3AC6800 000379BD D3AD8CC8 8722915C
	v_mfma_scale_f32_16x16x128_f8f6f4 a[204:207], v[92:95], v[76:79], a[204:207], v189, v188 op_sel_hi:[0,0,0] cbsz:4 blgp:4// 000000005168: D3AC7800 000379BD D3AD8CCC 8732995C
	v_mfma_scale_f32_16x16x128_f8f6f4 a[192:195], v[96:99], v[80:83], a[192:195], v189, v188 op_sel_hi:[0,0,0] cbsz:4 blgp:4// 000000005178: D3AC6000 180379BD D3AD8CC0 8702A160
	v_mfma_scale_f32_16x16x128_f8f6f4 a[196:199], v[96:99], v[84:87], a[196:199], v189, v188 op_sel_hi:[0,0,0] cbsz:4 blgp:4// 000000005188: D3AC7000 180379BD D3AD8CC4 8712A960
	v_mfma_scale_f32_16x16x128_f8f6f4 a[200:203], v[100:103], v[80:83], a[200:203], v189, v188 op_sel_hi:[0,0,0] cbsz:4 blgp:4// 000000005198: D3AC6800 180379BD D3AD8CC8 8722A164
	v_mfma_scale_f32_16x16x128_f8f6f4 a[204:207], v[100:103], v[84:87], a[204:207], v189, v188 op_sel_hi:[0,0,0] cbsz:4 blgp:4// 0000000051A8: D3AC7800 180379BD D3AD8CCC 8732A964
	s_waitcnt vmcnt(14)                                        // 0000000051B8: BF8C0F7E
	v_mfma_scale_f32_16x16x128_f8f6f4 a[16:19], v[104:107], v[8:11], a[16:19], v190, v184 op_sel_hi:[0,0,0] cbsz:4 blgp:4// 0000000051BC: D3AC6000 000371BE D3AD8C10 84421168
	s_add_u32 m0, 0x7380, s64                                  // 0000000051CC: 807C40FF 00007380
	buffer_load_dwordx4 v197, s[12:15], 0 offen lds            // 0000000051D4: E05D1000 800300C5
	v_mfma_scale_f32_16x16x128_f8f6f4 a[20:23], v[104:107], v[12:15], a[20:23], v190, v184 op_sel_hi:[0,0,0] cbsz:4 blgp:4// 0000000051DC: D3AC7000 000371BE D3AD8C14 84521968
	v_mfma_scale_f32_16x16x128_f8f6f4 a[24:27], v[108:111], v[8:11], a[24:27], v190, v184 op_sel_hi:[0,0,0] cbsz:4 blgp:4// 0000000051EC: D3AC6800 000371BE D3AD8C18 8462116C
	v_mfma_scale_f32_16x16x128_f8f6f4 a[28:31], v[108:111], v[12:15], a[28:31], v190, v184 op_sel_hi:[0,0,0] cbsz:4 blgp:4// 0000000051FC: D3AC7800 000371BE D3AD8C1C 8472196C
	v_mfma_scale_f32_16x16x128_f8f6f4 a[16:19], v[112:115], v[16:19], a[16:19], v190, v184 op_sel_hi:[0,0,0] cbsz:4 blgp:4// 00000000520C: D3AC6000 180371BE D3AD8C10 84422170
	s_add_u32 m0, 0x8400, s64                                  // 00000000521C: 807C40FF 00008400
	buffer_load_dwordx4 v198, s[12:15], 0 offen lds            // 000000005224: E05D1000 800300C6
	v_mfma_scale_f32_16x16x128_f8f6f4 a[20:23], v[112:115], v[20:23], a[20:23], v190, v184 op_sel_hi:[0,0,0] cbsz:4 blgp:4// 00000000522C: D3AC7000 180371BE D3AD8C14 84522970
	v_mfma_scale_f32_16x16x128_f8f6f4 a[24:27], v[116:119], v[16:19], a[24:27], v190, v184 op_sel_hi:[0,0,0] cbsz:4 blgp:4// 00000000523C: D3AC6800 180371BE D3AD8C18 84622174
	v_mfma_scale_f32_16x16x128_f8f6f4 a[28:31], v[116:119], v[20:23], a[28:31], v190, v184 op_sel_hi:[0,0,0] cbsz:4 blgp:4// 00000000524C: D3AC7800 180371BE D3AD8C1C 84722974
	v_mfma_scale_f32_16x16x128_f8f6f4 a[64:67], v[104:107], v[24:27], a[64:67], v190, v185 op_sel_hi:[0,0,0] cbsz:4 blgp:4// 00000000525C: D3AC6000 000373BE D3AD8C40 85023168
	s_add_u32 m0, 0x9480, s64                                  // 00000000526C: 807C40FF 00009480
	buffer_load_dwordx4 v199, s[12:15], 0 offen lds            // 000000005274: E05D1000 800300C7
	v_mfma_scale_f32_16x16x128_f8f6f4 a[68:71], v[104:107], v[28:31], a[68:71], v190, v185 op_sel_hi:[0,0,0] cbsz:4 blgp:4// 00000000527C: D3AC7000 000373BE D3AD8C44 85123968
	s_add_u32 s62, 0x200, s60                                  // 00000000528C: 803E3CFF 00000200
	s_cmp_lt_u32 s62, s61                                      // 000000005294: BF0A3D3E
	v_mfma_scale_f32_16x16x128_f8f6f4 a[72:75], v[108:111], v[24:27], a[72:75], v190, v185 op_sel_hi:[0,0,0] cbsz:4 blgp:4// 000000005298: D3AC6800 000373BE D3AD8C48 8522316C
	s_cselect_b32 s66, s66, 0                                  // 0000000052A8: 85428042
	s_cselect_b32 s68, s68, 0                                  // 0000000052AC: 85448044
	v_mfma_scale_f32_16x16x128_f8f6f4 a[76:79], v[108:111], v[28:31], a[76:79], v190, v185 op_sel_hi:[0,0,0] cbsz:4 blgp:4// 0000000052B0: D3AC7800 000373BE D3AD8C4C 8532396C
	s_add_u32 s12, s12, s66                                    // 0000000052C0: 800C420C
	s_addc_u32 s13, 0, s13                                     // 0000000052C4: 820D0D80
	v_mfma_scale_f32_16x16x128_f8f6f4 a[64:67], v[112:115], v[32:35], a[64:67], v190, v185 op_sel_hi:[0,0,0] cbsz:4 blgp:4// 0000000052C8: D3AC6000 180373BE D3AD8C40 85024170
	s_sub_u32 s14, s14, s66                                    // 0000000052D8: 808E420E
	buffer_load_dwordx4 v[152:155], v207, s[16:19], 0 offen    // 0000000052DC: E05C1000 800498CF
	v_mfma_scale_f32_16x16x128_f8f6f4 a[68:71], v[112:115], v[36:39], a[68:71], v190, v185 op_sel_hi:[0,0,0] cbsz:4 blgp:4// 0000000052E4: D3AC7000 180373BE D3AD8C44 85124970
	s_add_u32 s20, s20, s68                                    // 0000000052F4: 80144414
	s_addc_u32 s21, 0, s21                                     // 0000000052F8: 82151580
	v_mfma_scale_f32_16x16x128_f8f6f4 a[72:75], v[116:119], v[32:35], a[72:75], v190, v185 op_sel_hi:[0,0,0] cbsz:4 blgp:4// 0000000052FC: D3AC6800 180373BE D3AD8C48 85224174
	s_sub_u32 s22, s22, s68                                    // 00000000530C: 80964416
	v_mfma_scale_f32_16x16x128_f8f6f4 a[76:79], v[116:119], v[36:39], a[76:79], v190, v185 op_sel_hi:[0,0,0] cbsz:4 blgp:4// 000000005310: D3AC7800 180373BE D3AD8C4C 85324974
	v_mfma_scale_f32_16x16x128_f8f6f4 a[112:115], v[104:107], v[40:43], a[112:115], v190, v186 op_sel_hi:[0,0,0] cbsz:4 blgp:4// 000000005320: D3AC6000 000375BE D3AD8C70 85C25168
	buffer_load_dwordx4 v[156:159], v208, s[16:19], 0 offen    // 000000005330: E05C1000 80049CD0
	v_mfma_scale_f32_16x16x128_f8f6f4 a[116:119], v[104:107], v[44:47], a[116:119], v190, v186 op_sel_hi:[0,0,0] cbsz:4 blgp:4// 000000005338: D3AC7000 000375BE D3AD8C74 85D25968
	v_mfma_scale_f32_16x16x128_f8f6f4 a[120:123], v[108:111], v[40:43], a[120:123], v190, v186 op_sel_hi:[0,0,0] cbsz:4 blgp:4// 000000005348: D3AC6800 000375BE D3AD8C78 85E2516C
	v_mfma_scale_f32_16x16x128_f8f6f4 a[124:127], v[108:111], v[44:47], a[124:127], v190, v186 op_sel_hi:[0,0,0] cbsz:4 blgp:4// 000000005358: D3AC7800 000375BE D3AD8C7C 85F2596C
	v_mfma_scale_f32_16x16x128_f8f6f4 a[112:115], v[112:115], v[48:51], a[112:115], v190, v186 op_sel_hi:[0,0,0] cbsz:4 blgp:4// 000000005368: D3AC6000 180375BE D3AD8C70 85C26170
	buffer_load_dwordx4 v[160:163], v207, s[16:19], 0 offen offset:1024// 000000005378: E05C1400 8004A0CF
	v_mfma_scale_f32_16x16x128_f8f6f4 a[116:119], v[112:115], v[52:55], a[116:119], v190, v186 op_sel_hi:[0,0,0] cbsz:4 blgp:4// 000000005380: D3AC7000 180375BE D3AD8C74 85D26970
	v_mfma_scale_f32_16x16x128_f8f6f4 a[120:123], v[116:119], v[48:51], a[120:123], v190, v186 op_sel_hi:[0,0,0] cbsz:4 blgp:4// 000000005390: D3AC6800 180375BE D3AD8C78 85E26174
	v_mfma_scale_f32_16x16x128_f8f6f4 a[124:127], v[116:119], v[52:55], a[124:127], v190, v186 op_sel_hi:[0,0,0] cbsz:4 blgp:4// 0000000053A0: D3AC7800 180375BE D3AD8C7C 85F26974
	v_mfma_scale_f32_16x16x128_f8f6f4 a[160:163], v[104:107], v[56:59], a[160:163], v190, v187 op_sel_hi:[0,0,0] cbsz:4 blgp:4// 0000000053B0: D3AC6000 000377BE D3AD8CA0 86827168
	buffer_load_dwordx4 v[164:167], v208, s[16:19], 0 offen offset:1024// 0000000053C0: E05C1400 8004A4D0
	v_mfma_scale_f32_16x16x128_f8f6f4 a[164:167], v[104:107], v[60:63], a[164:167], v190, v187 op_sel_hi:[0,0,0] cbsz:4 blgp:4// 0000000053C8: D3AC7000 000377BE D3AD8CA4 86927968
	v_mfma_scale_f32_16x16x128_f8f6f4 a[168:171], v[108:111], v[56:59], a[168:171], v190, v187 op_sel_hi:[0,0,0] cbsz:4 blgp:4// 0000000053D8: D3AC6800 000377BE D3AD8CA8 86A2716C
	v_mfma_scale_f32_16x16x128_f8f6f4 a[172:175], v[108:111], v[60:63], a[172:175], v190, v187 op_sel_hi:[0,0,0] cbsz:4 blgp:4// 0000000053E8: D3AC7800 000377BE D3AD8CAC 86B2796C
	v_mfma_scale_f32_16x16x128_f8f6f4 a[160:163], v[112:115], v[64:67], a[160:163], v190, v187 op_sel_hi:[0,0,0] cbsz:4 blgp:4// 0000000053F8: D3AC6000 180377BE D3AD8CA0 86828170
	buffer_load_dword v193, v212, s[24:27], 0 offen            // 000000005408: E0501000 8006C1D4
	v_mfma_scale_f32_16x16x128_f8f6f4 a[164:167], v[112:115], v[68:71], a[164:167], v190, v187 op_sel_hi:[0,0,0] cbsz:4 blgp:4// 000000005410: D3AC7000 180377BE D3AD8CA4 86928970
	v_mfma_scale_f32_16x16x128_f8f6f4 a[168:171], v[116:119], v[64:67], a[168:171], v190, v187 op_sel_hi:[0,0,0] cbsz:4 blgp:4// 000000005420: D3AC6800 180377BE D3AD8CA8 86A28174
	v_mfma_scale_f32_16x16x128_f8f6f4 a[172:175], v[116:119], v[68:71], a[172:175], v190, v187 op_sel_hi:[0,0,0] cbsz:4 blgp:4// 000000005430: D3AC7800 180377BE D3AD8CAC 86B28974
	v_mfma_scale_f32_16x16x128_f8f6f4 a[208:211], v[104:107], v[72:75], a[208:211], v190, v188 op_sel_hi:[0,0,0] cbsz:4 blgp:4// 000000005440: D3AC6000 000379BE D3AD8CD0 87429168
	v_mfma_scale_f32_16x16x128_f8f6f4 a[212:215], v[104:107], v[76:79], a[212:215], v190, v188 op_sel_hi:[0,0,0] cbsz:4 blgp:4// 000000005450: D3AC7000 000379BE D3AD8CD4 87529968
	v_mfma_scale_f32_16x16x128_f8f6f4 a[216:219], v[108:111], v[72:75], a[216:219], v190, v188 op_sel_hi:[0,0,0] cbsz:4 blgp:4// 000000005460: D3AC6800 000379BE D3AD8CD8 8762916C
	v_mfma_scale_f32_16x16x128_f8f6f4 a[220:223], v[108:111], v[76:79], a[220:223], v190, v188 op_sel_hi:[0,0,0] cbsz:4 blgp:4// 000000005470: D3AC7800 000379BE D3AD8CDC 8772996C
	v_mfma_scale_f32_16x16x128_f8f6f4 a[208:211], v[112:115], v[80:83], a[208:211], v190, v188 op_sel_hi:[0,0,0] cbsz:4 blgp:4// 000000005480: D3AC6000 180379BE D3AD8CD0 8742A170
	v_mfma_scale_f32_16x16x128_f8f6f4 a[212:215], v[112:115], v[84:87], a[212:215], v190, v188 op_sel_hi:[0,0,0] cbsz:4 blgp:4// 000000005490: D3AC7000 180379BE D3AD8CD4 8752A970
	v_mfma_scale_f32_16x16x128_f8f6f4 a[216:219], v[116:119], v[80:83], a[216:219], v190, v188 op_sel_hi:[0,0,0] cbsz:4 blgp:4// 0000000054A0: D3AC6800 180379BE D3AD8CD8 8762A174
	v_mfma_scale_f32_16x16x128_f8f6f4 a[220:223], v[116:119], v[84:87], a[220:223], v190, v188 op_sel_hi:[0,0,0] cbsz:4 blgp:4// 0000000054B0: D3AC7800 180379BE D3AD8CDC 8772A974
	s_waitcnt vmcnt(17)                                        // 0000000054C0: BF8C4F71
	v_mfma_scale_f32_16x16x128_f8f6f4 a[32:35], v[120:123], v[8:11], a[32:35], v191, v184 op_sel_hi:[0,0,0] cbsz:4 blgp:4// 0000000054C4: D3AC6000 000371BF D3AD8C20 84821178
	s_add_u32 s63, 0x200, s60                                  // 0000000054D4: 803F3CFF 00000200
	buffer_load_dwordx4 v[168:171], v209, s[16:19], 0 offen    // 0000000054DC: E05C1000 8004A8D1
	v_mfma_scale_f32_16x16x128_f8f6f4 a[36:39], v[120:123], v[12:15], a[36:39], v191, v184 op_sel_hi:[0,0,0] cbsz:4 blgp:4// 0000000054E4: D3AC7000 000371BF D3AD8C24 84921978
	s_cmp_lt_u32 s63, s61                                      // 0000000054F4: BF0A3D3F
	s_cselect_b32 s67, s67, 0                                  // 0000000054F8: 85438043
	v_mfma_scale_f32_16x16x128_f8f6f4 a[40:43], v[124:127], v[8:11], a[40:43], v191, v184 op_sel_hi:[0,0,0] cbsz:4 blgp:4// 0000000054FC: D3AC6800 000371BF D3AD8C28 84A2117C
	s_cselect_b32 s69, s69, 0                                  // 00000000550C: 85458045
	v_mfma_scale_f32_16x16x128_f8f6f4 a[44:47], v[124:127], v[12:15], a[44:47], v191, v184 op_sel_hi:[0,0,0] cbsz:4 blgp:4// 000000005510: D3AC7800 000371BF D3AD8C2C 84B2197C
	v_mfma_scale_f32_16x16x128_f8f6f4 a[32:35], v[128:131], v[16:19], a[32:35], v191, v184 op_sel_hi:[0,0,0] cbsz:4 blgp:4// 000000005520: D3AC6000 180371BF D3AD8C20 84822180
	buffer_load_dwordx4 v[172:175], v210, s[16:19], 0 offen    // 000000005530: E05C1000 8004ACD2
	v_mfma_scale_f32_16x16x128_f8f6f4 a[36:39], v[128:131], v[20:23], a[36:39], v191, v184 op_sel_hi:[0,0,0] cbsz:4 blgp:4// 000000005538: D3AC7000 180371BF D3AD8C24 84922980
	v_mfma_scale_f32_16x16x128_f8f6f4 a[40:43], v[132:135], v[16:19], a[40:43], v191, v184 op_sel_hi:[0,0,0] cbsz:4 blgp:4// 000000005548: D3AC6800 180371BF D3AD8C28 84A22184
	v_mfma_scale_f32_16x16x128_f8f6f4 a[44:47], v[132:135], v[20:23], a[44:47], v191, v184 op_sel_hi:[0,0,0] cbsz:4 blgp:4// 000000005558: D3AC7800 180371BF D3AD8C2C 84B22984
	v_mfma_scale_f32_16x16x128_f8f6f4 a[80:83], v[120:123], v[24:27], a[80:83], v191, v185 op_sel_hi:[0,0,0] cbsz:4 blgp:4// 000000005568: D3AC6000 000373BF D3AD8C50 85423178
	buffer_load_dwordx4 v[176:179], v209, s[16:19], 0 offen offset:1024// 000000005578: E05C1400 8004B0D1
	v_mfma_scale_f32_16x16x128_f8f6f4 a[84:87], v[120:123], v[28:31], a[84:87], v191, v185 op_sel_hi:[0,0,0] cbsz:4 blgp:4// 000000005580: D3AC7000 000373BF D3AD8C54 85523978
	v_mfma_scale_f32_16x16x128_f8f6f4 a[88:91], v[124:127], v[24:27], a[88:91], v191, v185 op_sel_hi:[0,0,0] cbsz:4 blgp:4// 000000005590: D3AC6800 000373BF D3AD8C58 8562317C
	v_mfma_scale_f32_16x16x128_f8f6f4 a[92:95], v[124:127], v[28:31], a[92:95], v191, v185 op_sel_hi:[0,0,0] cbsz:4 blgp:4// 0000000055A0: D3AC7800 000373BF D3AD8C5C 8572397C
	v_mfma_scale_f32_16x16x128_f8f6f4 a[80:83], v[128:131], v[32:35], a[80:83], v191, v185 op_sel_hi:[0,0,0] cbsz:4 blgp:4// 0000000055B0: D3AC6000 180373BF D3AD8C50 85424180
	buffer_load_dwordx4 v[180:183], v210, s[16:19], 0 offen offset:1024// 0000000055C0: E05C1400 8004B4D2
	v_mfma_scale_f32_16x16x128_f8f6f4 a[84:87], v[128:131], v[36:39], a[84:87], v191, v185 op_sel_hi:[0,0,0] cbsz:4 blgp:4// 0000000055C8: D3AC7000 180373BF D3AD8C54 85524980
	v_mfma_scale_f32_16x16x128_f8f6f4 a[88:91], v[132:135], v[32:35], a[88:91], v191, v185 op_sel_hi:[0,0,0] cbsz:4 blgp:4// 0000000055D8: D3AC6800 180373BF D3AD8C58 85624184
	v_mfma_scale_f32_16x16x128_f8f6f4 a[92:95], v[132:135], v[36:39], a[92:95], v191, v185 op_sel_hi:[0,0,0] cbsz:4 blgp:4// 0000000055E8: D3AC7800 180373BF D3AD8C5C 85724984
	v_mfma_scale_f32_16x16x128_f8f6f4 a[128:131], v[120:123], v[40:43], a[128:131], v191, v186 op_sel_hi:[0,0,0] cbsz:4 blgp:4// 0000000055F8: D3AC6000 000375BF D3AD8C80 86025178
	buffer_load_dword v194, v213, s[24:27], 0 offen            // 000000005608: E0501000 8006C2D5
	v_mfma_scale_f32_16x16x128_f8f6f4 a[132:135], v[120:123], v[44:47], a[132:135], v191, v186 op_sel_hi:[0,0,0] cbsz:4 blgp:4// 000000005610: D3AC7000 000375BF D3AD8C84 86125978
	s_add_u32 s16, s16, s67                                    // 000000005620: 80104310
	s_addc_u32 s17, 0, s17                                     // 000000005624: 82111180
	v_mfma_scale_f32_16x16x128_f8f6f4 a[136:139], v[124:127], v[40:43], a[136:139], v191, v186 op_sel_hi:[0,0,0] cbsz:4 blgp:4// 000000005628: D3AC6800 000375BF D3AD8C88 8622517C
	s_sub_u32 s18, s18, s67                                    // 000000005638: 80924312
	s_add_u32 s24, s24, s69                                    // 00000000563C: 80184518
	v_mfma_scale_f32_16x16x128_f8f6f4 a[140:143], v[124:127], v[44:47], a[140:143], v191, v186 op_sel_hi:[0,0,0] cbsz:4 blgp:4// 000000005640: D3AC7800 000375BF D3AD8C8C 8632597C
	s_addc_u32 s25, 0, s25                                     // 000000005650: 82191980
	s_sub_u32 s26, s26, s69                                    // 000000005654: 809A451A
	v_mfma_scale_f32_16x16x128_f8f6f4 a[128:131], v[128:131], v[48:51], a[128:131], v191, v186 op_sel_hi:[0,0,0] cbsz:4 blgp:4// 000000005658: D3AC6000 180375BF D3AD8C80 86026180
	s_addk_i32 s60, 0x100                                      // 000000005668: B73C0100
	s_cmp_lt_i32 s60, s61                                      // 00000000566C: BF043D3C
	v_mfma_scale_f32_16x16x128_f8f6f4 a[132:135], v[128:131], v[52:55], a[132:135], v191, v186 op_sel_hi:[0,0,0] cbsz:4 blgp:4// 000000005670: D3AC7000 180375BF D3AD8C84 86126980
	v_mfma_scale_f32_16x16x128_f8f6f4 a[136:139], v[132:135], v[48:51], a[136:139], v191, v186 op_sel_hi:[0,0,0] cbsz:4 blgp:4// 000000005680: D3AC6800 180375BF D3AD8C88 86226184
	v_mfma_scale_f32_16x16x128_f8f6f4 a[140:143], v[132:135], v[52:55], a[140:143], v191, v186 op_sel_hi:[0,0,0] cbsz:4 blgp:4// 000000005690: D3AC7800 180375BF D3AD8C8C 86326984
	s_waitcnt vmcnt(18)                                        // 0000000056A0: BF8C4F72
	s_barrier                                                  // 0000000056A4: BF8A0000
	v_mfma_scale_f32_16x16x128_f8f6f4 a[176:179], v[120:123], v[56:59], a[176:179], v191, v187 op_sel_hi:[0,0,0] cbsz:4 blgp:4// 0000000056A8: D3AC6000 000377BF D3AD8CB0 86C27178
	v_mfma_scale_f32_16x16x128_f8f6f4 a[180:183], v[120:123], v[60:63], a[180:183], v191, v187 op_sel_hi:[0,0,0] cbsz:4 blgp:4// 0000000056B8: D3AC7000 000377BF D3AD8CB4 86D27978
	ds_read_b128 v[8:11], v201                                 // 0000000056C8: D9FE0000 080000C9
	v_mfma_scale_f32_16x16x128_f8f6f4 a[184:187], v[124:127], v[56:59], a[184:187], v191, v187 op_sel_hi:[0,0,0] cbsz:4 blgp:4// 0000000056D0: D3AC6800 000377BF D3AD8CB8 86E2717C
	v_mfma_scale_f32_16x16x128_f8f6f4 a[188:191], v[124:127], v[60:63], a[188:191], v191, v187 op_sel_hi:[0,0,0] cbsz:4 blgp:4// 0000000056E0: D3AC7800 000377BF D3AD8CBC 86F2797C
	ds_read_b128 v[16:19], v201 offset:64                      // 0000000056F0: D9FE0040 100000C9
	v_mfma_scale_f32_16x16x128_f8f6f4 a[176:179], v[128:131], v[64:67], a[176:179], v191, v187 op_sel_hi:[0,0,0] cbsz:4 blgp:4// 0000000056F8: D3AC6000 180377BF D3AD8CB0 86C28180
	v_mfma_scale_f32_16x16x128_f8f6f4 a[180:183], v[128:131], v[68:71], a[180:183], v191, v187 op_sel_hi:[0,0,0] cbsz:4 blgp:4// 000000005708: D3AC7000 180377BF D3AD8CB4 86D28980
	ds_read_b128 v[12:15], v201 offset:512                     // 000000005718: D9FE0200 0C0000C9
	v_mfma_scale_f32_16x16x128_f8f6f4 a[184:187], v[132:135], v[64:67], a[184:187], v191, v187 op_sel_hi:[0,0,0] cbsz:4 blgp:4// 000000005720: D3AC6800 180377BF D3AD8CB8 86E28184
	v_mfma_scale_f32_16x16x128_f8f6f4 a[188:191], v[132:135], v[68:71], a[188:191], v191, v187 op_sel_hi:[0,0,0] cbsz:4 blgp:4// 000000005730: D3AC7800 180377BF D3AD8CBC 86F28984
	ds_read_b128 v[20:23], v201 offset:576                     // 000000005740: D9FE0240 140000C9
	ds_read_b32 v184, v204 offset:2048                         // 000000005748: D86C0800 B80000CC
	v_mfma_scale_f32_16x16x128_f8f6f4 a[224:227], v[120:123], v[72:75], a[224:227], v191, v188 op_sel_hi:[0,0,0] cbsz:4 blgp:4// 000000005750: D3AC6000 000379BF D3AD8CE0 87829178
	v_mfma_scale_f32_16x16x128_f8f6f4 a[228:231], v[120:123], v[76:79], a[228:231], v191, v188 op_sel_hi:[0,0,0] cbsz:4 blgp:4// 000000005760: D3AC7000 000379BF D3AD8CE4 87929978
	ds_read_b128 v[24:27], v201 offset:4224                    // 000000005770: D9FE1080 180000C9
	v_mfma_scale_f32_16x16x128_f8f6f4 a[232:235], v[124:127], v[72:75], a[232:235], v191, v188 op_sel_hi:[0,0,0] cbsz:4 blgp:4// 000000005778: D3AC6800 000379BF D3AD8CE8 87A2917C
	v_mfma_scale_f32_16x16x128_f8f6f4 a[236:239], v[124:127], v[76:79], a[236:239], v191, v188 op_sel_hi:[0,0,0] cbsz:4 blgp:4// 000000005788: D3AC7800 000379BF D3AD8CEC 87B2997C
	ds_read_b128 v[32:35], v201 offset:4288                    // 000000005798: D9FE10C0 200000C9
	v_mfma_scale_f32_16x16x128_f8f6f4 a[224:227], v[128:131], v[80:83], a[224:227], v191, v188 op_sel_hi:[0,0,0] cbsz:4 blgp:4// 0000000057A0: D3AC6000 180379BF D3AD8CE0 8782A180
	v_mfma_scale_f32_16x16x128_f8f6f4 a[228:231], v[128:131], v[84:87], a[228:231], v191, v188 op_sel_hi:[0,0,0] cbsz:4 blgp:4// 0000000057B0: D3AC7000 180379BF D3AD8CE4 8792A980
	ds_read_b128 v[28:31], v201 offset:4736                    // 0000000057C0: D9FE1280 1C0000C9
	v_mfma_scale_f32_16x16x128_f8f6f4 a[232:235], v[132:135], v[80:83], a[232:235], v191, v188 op_sel_hi:[0,0,0] cbsz:4 blgp:4// 0000000057C8: D3AC6800 180379BF D3AD8CE8 87A2A184
	v_mfma_scale_f32_16x16x128_f8f6f4 a[236:239], v[132:135], v[84:87], a[236:239], v191, v188 op_sel_hi:[0,0,0] cbsz:4 blgp:4// 0000000057D8: D3AC7800 180379BF D3AD8CEC 87B2A984
	ds_read_b128 v[36:39], v201 offset:4800                    // 0000000057E8: D9FE12C0 240000C9
	ds_read_b32 v185, v204 offset:2304                         // 0000000057F0: D86C0900 B90000CC
	s_cbranch_scc0 label_0D6D                                  // 0000000057F8: BF84026E
	s_waitcnt vmcnt(10) lgkmcnt(5)                             // 0000000057FC: BF8C057A
	s_barrier                                                  // 000000005800: BF8A0000
	v_mfma_scale_f32_16x16x128_f8f6f4 a[0:3], v[136:139], v[8:11], a[0:3], v192, v184 op_sel_hi:[0,0,0] cbsz:4 blgp:4// 000000005804: D3AC6000 000371C0 D3AD8C00 84021188
	s_add_u32 m0, 0, s65                                       // 000000005814: 807C4180
	buffer_load_dword v202, s[20:23], 0 offen lds              // 000000005818: E0511000 800500CA
	v_mfma_scale_f32_16x16x128_f8f6f4 a[4:7], v[136:139], v[12:15], a[4:7], v192, v184 op_sel_hi:[0,0,0] cbsz:4 blgp:4// 000000005820: D3AC7000 000371C0 D3AD8C04 84121988
	ds_read_b128 v[40:43], v201 offset:8448                    // 000000005830: D9FE2100 280000C9
	v_mfma_scale_f32_16x16x128_f8f6f4 a[8:11], v[140:143], v[8:11], a[8:11], v192, v184 op_sel_hi:[0,0,0] cbsz:4 blgp:4// 000000005838: D3AC6800 000371C0 D3AD8C08 8422118C
	v_mfma_scale_f32_16x16x128_f8f6f4 a[12:15], v[140:143], v[12:15], a[12:15], v192, v184 op_sel_hi:[0,0,0] cbsz:4 blgp:4// 000000005848: D3AC7800 000371C0 D3AD8C0C 8432198C
	ds_read_b128 v[48:51], v201 offset:8512                    // 000000005858: D9FE2140 300000C9
	v_mfma_scale_f32_16x16x128_f8f6f4 a[0:3], v[144:147], v[16:19], a[0:3], v192, v184 op_sel_hi:[0,0,0] cbsz:4 blgp:4// 000000005860: D3AC6000 180371C0 D3AD8C00 84022190
	s_add_u32 m0, 0x400, s65                                   // 000000005870: 807C41FF 00000400
	buffer_load_dword v203, s[20:23], 0 offen lds              // 000000005878: E0511000 800500CB
	v_mfma_scale_f32_16x16x128_f8f6f4 a[4:7], v[144:147], v[20:23], a[4:7], v192, v184 op_sel_hi:[0,0,0] cbsz:4 blgp:4// 000000005880: D3AC7000 180371C0 D3AD8C04 84122990
	ds_read_b128 v[44:47], v201 offset:8960                    // 000000005890: D9FE2300 2C0000C9
	v_mfma_scale_f32_16x16x128_f8f6f4 a[8:11], v[148:151], v[16:19], a[8:11], v192, v184 op_sel_hi:[0,0,0] cbsz:4 blgp:4// 000000005898: D3AC6800 180371C0 D3AD8C08 84222194
	v_mfma_scale_f32_16x16x128_f8f6f4 a[12:15], v[148:151], v[20:23], a[12:15], v192, v184 op_sel_hi:[0,0,0] cbsz:4 blgp:4// 0000000058A8: D3AC7800 180371C0 D3AD8C0C 84322994
	ds_read_b128 v[52:55], v201 offset:9024                    // 0000000058B8: D9FE2340 340000C9
	ds_read_b32 v186, v204 offset:2560                         // 0000000058C0: D86C0A00 BA0000CC
	s_waitcnt lgkmcnt(5)                                       // 0000000058C8: BF8CC57F
	v_mfma_scale_f32_16x16x128_f8f6f4 a[48:51], v[136:139], v[24:27], a[48:51], v192, v185 op_sel_hi:[0,0,0] cbsz:4 blgp:4// 0000000058CC: D3AC6000 000373C0 D3AD8C30 84C23188
	s_add_u32 m0, 0, s64                                       // 0000000058DC: 807C4080
	buffer_load_dwordx4 v195, s[12:15], 0 offen lds            // 0000000058E0: E05D1000 800300C3
	v_mfma_scale_f32_16x16x128_f8f6f4 a[52:55], v[136:139], v[28:31], a[52:55], v192, v185 op_sel_hi:[0,0,0] cbsz:4 blgp:4// 0000000058E8: D3AC7000 000373C0 D3AD8C34 84D23988
	ds_read_b128 v[56:59], v201 offset:12672                   // 0000000058F8: D9FE3180 380000C9
	v_mfma_scale_f32_16x16x128_f8f6f4 a[56:59], v[140:143], v[24:27], a[56:59], v192, v185 op_sel_hi:[0,0,0] cbsz:4 blgp:4// 000000005900: D3AC6800 000373C0 D3AD8C38 84E2318C
	v_mfma_scale_f32_16x16x128_f8f6f4 a[60:63], v[140:143], v[28:31], a[60:63], v192, v185 op_sel_hi:[0,0,0] cbsz:4 blgp:4// 000000005910: D3AC7800 000373C0 D3AD8C3C 84F2398C
	ds_read_b128 v[64:67], v201 offset:12736                   // 000000005920: D9FE31C0 400000C9
	v_mfma_scale_f32_16x16x128_f8f6f4 a[48:51], v[144:147], v[32:35], a[48:51], v192, v185 op_sel_hi:[0,0,0] cbsz:4 blgp:4// 000000005928: D3AC6000 180373C0 D3AD8C30 84C24190
	s_add_u32 m0, 0x1080, s64                                  // 000000005938: 807C40FF 00001080
	buffer_load_dwordx4 v196, s[12:15], 0 offen lds            // 000000005940: E05D1000 800300C4
	v_mfma_scale_f32_16x16x128_f8f6f4 a[52:55], v[144:147], v[36:39], a[52:55], v192, v185 op_sel_hi:[0,0,0] cbsz:4 blgp:4// 000000005948: D3AC7000 180373C0 D3AD8C34 84D24990
	ds_read_b128 v[60:63], v201 offset:13184                   // 000000005958: D9FE3380 3C0000C9
	v_mfma_scale_f32_16x16x128_f8f6f4 a[56:59], v[148:151], v[32:35], a[56:59], v192, v185 op_sel_hi:[0,0,0] cbsz:4 blgp:4// 000000005960: D3AC6800 180373C0 D3AD8C38 84E24194
	v_mfma_scale_f32_16x16x128_f8f6f4 a[60:63], v[148:151], v[36:39], a[60:63], v192, v185 op_sel_hi:[0,0,0] cbsz:4 blgp:4// 000000005970: D3AC7800 180373C0 D3AD8C3C 84F24994
	ds_read_b128 v[68:71], v201 offset:13248                   // 000000005980: D9FE33C0 440000C9
	ds_read_b32 v187, v204 offset:2816                         // 000000005988: D86C0B00 BB0000CC
	s_waitcnt lgkmcnt(5)                                       // 000000005990: BF8CC57F
	v_mfma_scale_f32_16x16x128_f8f6f4 a[96:99], v[136:139], v[40:43], a[96:99], v192, v186 op_sel_hi:[0,0,0] cbsz:4 blgp:4// 000000005994: D3AC6000 000375C0 D3AD8C60 85825188
	buffer_load_dwordx4 v[88:91], v205, s[16:19], 0 offen      // 0000000059A4: E05C1000 800458CD
	v_mfma_scale_f32_16x16x128_f8f6f4 a[100:103], v[136:139], v[44:47], a[100:103], v192, v186 op_sel_hi:[0,0,0] cbsz:4 blgp:4// 0000000059AC: D3AC7000 000375C0 D3AD8C64 85925988
	ds_read_b128 v[72:75], v201 offset:16896                   // 0000000059BC: D9FE4200 480000C9
	v_mfma_scale_f32_16x16x128_f8f6f4 a[104:107], v[140:143], v[40:43], a[104:107], v192, v186 op_sel_hi:[0,0,0] cbsz:4 blgp:4// 0000000059C4: D3AC6800 000375C0 D3AD8C68 85A2518C
	v_mfma_scale_f32_16x16x128_f8f6f4 a[108:111], v[140:143], v[44:47], a[108:111], v192, v186 op_sel_hi:[0,0,0] cbsz:4 blgp:4// 0000000059D4: D3AC7800 000375C0 D3AD8C6C 85B2598C
	ds_read_b128 v[80:83], v201 offset:16960                   // 0000000059E4: D9FE4240 500000C9
	v_mfma_scale_f32_16x16x128_f8f6f4 a[96:99], v[144:147], v[48:51], a[96:99], v192, v186 op_sel_hi:[0,0,0] cbsz:4 blgp:4// 0000000059EC: D3AC6000 180375C0 D3AD8C60 85826190
	buffer_load_dwordx4 v[92:95], v206, s[16:19], 0 offen      // 0000000059FC: E05C1000 80045CCE
	v_mfma_scale_f32_16x16x128_f8f6f4 a[100:103], v[144:147], v[52:55], a[100:103], v192, v186 op_sel_hi:[0,0,0] cbsz:4 blgp:4// 000000005A04: D3AC7000 180375C0 D3AD8C64 85926990
	ds_read_b128 v[76:79], v201 offset:17408                   // 000000005A14: D9FE4400 4C0000C9
	v_mfma_scale_f32_16x16x128_f8f6f4 a[104:107], v[148:151], v[48:51], a[104:107], v192, v186 op_sel_hi:[0,0,0] cbsz:4 blgp:4// 000000005A1C: D3AC6800 180375C0 D3AD8C68 85A26194
	v_mfma_scale_f32_16x16x128_f8f6f4 a[108:111], v[148:151], v[52:55], a[108:111], v192, v186 op_sel_hi:[0,0,0] cbsz:4 blgp:4// 000000005A2C: D3AC7800 180375C0 D3AD8C6C 85B26994
	ds_read_b128 v[84:87], v201 offset:17472                   // 000000005A3C: D9FE4440 540000C9
	ds_read_b32 v188, v204 offset:3072                         // 000000005A44: D86C0C00 BC0000CC
	s_waitcnt lgkmcnt(5)                                       // 000000005A4C: BF8CC57F
	v_mfma_scale_f32_16x16x128_f8f6f4 a[144:147], v[136:139], v[56:59], a[144:147], v192, v187 op_sel_hi:[0,0,0] cbsz:4 blgp:4// 000000005A50: D3AC6000 000377C0 D3AD8C90 86427188
	buffer_load_dwordx4 v[96:99], v205, s[16:19], 0 offen offset:1024// 000000005A60: E05C1400 800460CD
	v_mfma_scale_f32_16x16x128_f8f6f4 a[148:151], v[136:139], v[60:63], a[148:151], v192, v187 op_sel_hi:[0,0,0] cbsz:4 blgp:4// 000000005A68: D3AC7000 000377C0 D3AD8C94 86527988
	v_mfma_scale_f32_16x16x128_f8f6f4 a[152:155], v[140:143], v[56:59], a[152:155], v192, v187 op_sel_hi:[0,0,0] cbsz:4 blgp:4// 000000005A78: D3AC6800 000377C0 D3AD8C98 8662718C
	v_mfma_scale_f32_16x16x128_f8f6f4 a[156:159], v[140:143], v[60:63], a[156:159], v192, v187 op_sel_hi:[0,0,0] cbsz:4 blgp:4// 000000005A88: D3AC7800 000377C0 D3AD8C9C 8672798C
	v_mfma_scale_f32_16x16x128_f8f6f4 a[144:147], v[144:147], v[64:67], a[144:147], v192, v187 op_sel_hi:[0,0,0] cbsz:4 blgp:4// 000000005A98: D3AC6000 180377C0 D3AD8C90 86428190
	buffer_load_dwordx4 v[100:103], v206, s[16:19], 0 offen offset:1024// 000000005AA8: E05C1400 800464CE
	v_mfma_scale_f32_16x16x128_f8f6f4 a[148:151], v[144:147], v[68:71], a[148:151], v192, v187 op_sel_hi:[0,0,0] cbsz:4 blgp:4// 000000005AB0: D3AC7000 180377C0 D3AD8C94 86528990
	v_mfma_scale_f32_16x16x128_f8f6f4 a[152:155], v[148:151], v[64:67], a[152:155], v192, v187 op_sel_hi:[0,0,0] cbsz:4 blgp:4// 000000005AC0: D3AC6800 180377C0 D3AD8C98 86628194
	v_mfma_scale_f32_16x16x128_f8f6f4 a[156:159], v[148:151], v[68:71], a[156:159], v192, v187 op_sel_hi:[0,0,0] cbsz:4 blgp:4// 000000005AD0: D3AC7800 180377C0 D3AD8C9C 86728994
	s_waitcnt lgkmcnt(0)                                       // 000000005AE0: BF8CC07F
	v_mfma_scale_f32_16x16x128_f8f6f4 a[192:195], v[136:139], v[72:75], a[192:195], v192, v188 op_sel_hi:[0,0,0] cbsz:4 blgp:4// 000000005AE4: D3AC6000 000379C0 D3AD8CC0 87029188
	buffer_load_dword v189, v211, s[24:27], 0 offen            // 000000005AF4: E0501000 8006BDD3
	v_mfma_scale_f32_16x16x128_f8f6f4 a[196:199], v[136:139], v[76:79], a[196:199], v192, v188 op_sel_hi:[0,0,0] cbsz:4 blgp:4// 000000005AFC: D3AC7000 000379C0 D3AD8CC4 87129988
	v_mfma_scale_f32_16x16x128_f8f6f4 a[200:203], v[140:143], v[72:75], a[200:203], v192, v188 op_sel_hi:[0,0,0] cbsz:4 blgp:4// 000000005B0C: D3AC6800 000379C0 D3AD8CC8 8722918C
	v_mfma_scale_f32_16x16x128_f8f6f4 a[204:207], v[140:143], v[76:79], a[204:207], v192, v188 op_sel_hi:[0,0,0] cbsz:4 blgp:4// 000000005B1C: D3AC7800 000379C0 D3AD8CCC 8732998C
	v_mfma_scale_f32_16x16x128_f8f6f4 a[192:195], v[144:147], v[80:83], a[192:195], v192, v188 op_sel_hi:[0,0,0] cbsz:4 blgp:4// 000000005B2C: D3AC6000 180379C0 D3AD8CC0 8702A190
	v_mfma_scale_f32_16x16x128_f8f6f4 a[196:199], v[144:147], v[84:87], a[196:199], v192, v188 op_sel_hi:[0,0,0] cbsz:4 blgp:4// 000000005B3C: D3AC7000 180379C0 D3AD8CC4 8712A990
	v_mfma_scale_f32_16x16x128_f8f6f4 a[200:203], v[148:151], v[80:83], a[200:203], v192, v188 op_sel_hi:[0,0,0] cbsz:4 blgp:4// 000000005B4C: D3AC6800 180379C0 D3AD8CC8 8722A194
	v_mfma_scale_f32_16x16x128_f8f6f4 a[204:207], v[148:151], v[84:87], a[204:207], v192, v188 op_sel_hi:[0,0,0] cbsz:4 blgp:4// 000000005B5C: D3AC7800 180379C0 D3AD8CCC 8732A994
	s_waitcnt vmcnt(14)                                        // 000000005B6C: BF8C0F7E
	v_mfma_scale_f32_16x16x128_f8f6f4 a[16:19], v[152:155], v[8:11], a[16:19], v193, v184 op_sel_hi:[0,0,0] cbsz:4 blgp:4// 000000005B70: D3AC6000 000371C1 D3AD8C10 84421198
	s_add_u32 m0, 0x2100, s64                                  // 000000005B80: 807C40FF 00002100
	buffer_load_dwordx4 v197, s[12:15], 0 offen lds            // 000000005B88: E05D1000 800300C5
	v_mfma_scale_f32_16x16x128_f8f6f4 a[20:23], v[152:155], v[12:15], a[20:23], v193, v184 op_sel_hi:[0,0,0] cbsz:4 blgp:4// 000000005B90: D3AC7000 000371C1 D3AD8C14 84521998
	v_mfma_scale_f32_16x16x128_f8f6f4 a[24:27], v[156:159], v[8:11], a[24:27], v193, v184 op_sel_hi:[0,0,0] cbsz:4 blgp:4// 000000005BA0: D3AC6800 000371C1 D3AD8C18 8462119C
	v_mfma_scale_f32_16x16x128_f8f6f4 a[28:31], v[156:159], v[12:15], a[28:31], v193, v184 op_sel_hi:[0,0,0] cbsz:4 blgp:4// 000000005BB0: D3AC7800 000371C1 D3AD8C1C 8472199C
	v_mfma_scale_f32_16x16x128_f8f6f4 a[16:19], v[160:163], v[16:19], a[16:19], v193, v184 op_sel_hi:[0,0,0] cbsz:4 blgp:4// 000000005BC0: D3AC6000 180371C1 D3AD8C10 844221A0
	s_add_u32 m0, 0x3180, s64                                  // 000000005BD0: 807C40FF 00003180
	buffer_load_dwordx4 v198, s[12:15], 0 offen lds            // 000000005BD8: E05D1000 800300C6
	v_mfma_scale_f32_16x16x128_f8f6f4 a[20:23], v[160:163], v[20:23], a[20:23], v193, v184 op_sel_hi:[0,0,0] cbsz:4 blgp:4// 000000005BE0: D3AC7000 180371C1 D3AD8C14 845229A0
	v_mfma_scale_f32_16x16x128_f8f6f4 a[24:27], v[164:167], v[16:19], a[24:27], v193, v184 op_sel_hi:[0,0,0] cbsz:4 blgp:4// 000000005BF0: D3AC6800 180371C1 D3AD8C18 846221A4
	v_mfma_scale_f32_16x16x128_f8f6f4 a[28:31], v[164:167], v[20:23], a[28:31], v193, v184 op_sel_hi:[0,0,0] cbsz:4 blgp:4// 000000005C00: D3AC7800 180371C1 D3AD8C1C 847229A4
	v_mfma_scale_f32_16x16x128_f8f6f4 a[64:67], v[152:155], v[24:27], a[64:67], v193, v185 op_sel_hi:[0,0,0] cbsz:4 blgp:4// 000000005C10: D3AC6000 000373C1 D3AD8C40 85023198
	s_add_u32 m0, 0x4200, s64                                  // 000000005C20: 807C40FF 00004200
	buffer_load_dwordx4 v199, s[12:15], 0 offen lds            // 000000005C28: E05D1000 800300C7
	v_mfma_scale_f32_16x16x128_f8f6f4 a[68:71], v[152:155], v[28:31], a[68:71], v193, v185 op_sel_hi:[0,0,0] cbsz:4 blgp:4// 000000005C30: D3AC7000 000373C1 D3AD8C44 85123998
	s_add_u32 s62, 0x200, s60                                  // 000000005C40: 803E3CFF 00000200
	s_cmp_lt_u32 s62, s61                                      // 000000005C48: BF0A3D3E
	v_mfma_scale_f32_16x16x128_f8f6f4 a[72:75], v[156:159], v[24:27], a[72:75], v193, v185 op_sel_hi:[0,0,0] cbsz:4 blgp:4// 000000005C4C: D3AC6800 000373C1 D3AD8C48 8522319C
	s_cselect_b32 s66, s66, 0                                  // 000000005C5C: 85428042
	s_cselect_b32 s68, s68, 0                                  // 000000005C60: 85448044
	v_mfma_scale_f32_16x16x128_f8f6f4 a[76:79], v[156:159], v[28:31], a[76:79], v193, v185 op_sel_hi:[0,0,0] cbsz:4 blgp:4// 000000005C64: D3AC7800 000373C1 D3AD8C4C 8532399C
	s_add_u32 s12, s12, s66                                    // 000000005C74: 800C420C
	s_addc_u32 s13, 0, s13                                     // 000000005C78: 820D0D80
	v_mfma_scale_f32_16x16x128_f8f6f4 a[64:67], v[160:163], v[32:35], a[64:67], v193, v185 op_sel_hi:[0,0,0] cbsz:4 blgp:4// 000000005C7C: D3AC6000 180373C1 D3AD8C40 850241A0
	s_sub_u32 s14, s14, s66                                    // 000000005C8C: 808E420E
	buffer_load_dwordx4 v[104:107], v207, s[16:19], 0 offen    // 000000005C90: E05C1000 800468CF
	v_mfma_scale_f32_16x16x128_f8f6f4 a[68:71], v[160:163], v[36:39], a[68:71], v193, v185 op_sel_hi:[0,0,0] cbsz:4 blgp:4// 000000005C98: D3AC7000 180373C1 D3AD8C44 851249A0
	s_add_u32 s20, s20, s68                                    // 000000005CA8: 80144414
	s_addc_u32 s21, 0, s21                                     // 000000005CAC: 82151580
	v_mfma_scale_f32_16x16x128_f8f6f4 a[72:75], v[164:167], v[32:35], a[72:75], v193, v185 op_sel_hi:[0,0,0] cbsz:4 blgp:4// 000000005CB0: D3AC6800 180373C1 D3AD8C48 852241A4
	s_sub_u32 s22, s22, s68                                    // 000000005CC0: 80964416
	v_mfma_scale_f32_16x16x128_f8f6f4 a[76:79], v[164:167], v[36:39], a[76:79], v193, v185 op_sel_hi:[0,0,0] cbsz:4 blgp:4// 000000005CC4: D3AC7800 180373C1 D3AD8C4C 853249A4
	v_mfma_scale_f32_16x16x128_f8f6f4 a[112:115], v[152:155], v[40:43], a[112:115], v193, v186 op_sel_hi:[0,0,0] cbsz:4 blgp:4// 000000005CD4: D3AC6000 000375C1 D3AD8C70 85C25198
	buffer_load_dwordx4 v[108:111], v208, s[16:19], 0 offen    // 000000005CE4: E05C1000 80046CD0
	v_mfma_scale_f32_16x16x128_f8f6f4 a[116:119], v[152:155], v[44:47], a[116:119], v193, v186 op_sel_hi:[0,0,0] cbsz:4 blgp:4// 000000005CEC: D3AC7000 000375C1 D3AD8C74 85D25998
	v_mfma_scale_f32_16x16x128_f8f6f4 a[120:123], v[156:159], v[40:43], a[120:123], v193, v186 op_sel_hi:[0,0,0] cbsz:4 blgp:4// 000000005CFC: D3AC6800 000375C1 D3AD8C78 85E2519C
	v_mfma_scale_f32_16x16x128_f8f6f4 a[124:127], v[156:159], v[44:47], a[124:127], v193, v186 op_sel_hi:[0,0,0] cbsz:4 blgp:4// 000000005D0C: D3AC7800 000375C1 D3AD8C7C 85F2599C
	v_mfma_scale_f32_16x16x128_f8f6f4 a[112:115], v[160:163], v[48:51], a[112:115], v193, v186 op_sel_hi:[0,0,0] cbsz:4 blgp:4// 000000005D1C: D3AC6000 180375C1 D3AD8C70 85C261A0
	buffer_load_dwordx4 v[112:115], v207, s[16:19], 0 offen offset:1024// 000000005D2C: E05C1400 800470CF
	v_mfma_scale_f32_16x16x128_f8f6f4 a[116:119], v[160:163], v[52:55], a[116:119], v193, v186 op_sel_hi:[0,0,0] cbsz:4 blgp:4// 000000005D34: D3AC7000 180375C1 D3AD8C74 85D269A0
	v_mfma_scale_f32_16x16x128_f8f6f4 a[120:123], v[164:167], v[48:51], a[120:123], v193, v186 op_sel_hi:[0,0,0] cbsz:4 blgp:4// 000000005D44: D3AC6800 180375C1 D3AD8C78 85E261A4
	v_mfma_scale_f32_16x16x128_f8f6f4 a[124:127], v[164:167], v[52:55], a[124:127], v193, v186 op_sel_hi:[0,0,0] cbsz:4 blgp:4// 000000005D54: D3AC7800 180375C1 D3AD8C7C 85F269A4
	v_mfma_scale_f32_16x16x128_f8f6f4 a[160:163], v[152:155], v[56:59], a[160:163], v193, v187 op_sel_hi:[0,0,0] cbsz:4 blgp:4// 000000005D64: D3AC6000 000377C1 D3AD8CA0 86827198
	buffer_load_dwordx4 v[116:119], v208, s[16:19], 0 offen offset:1024// 000000005D74: E05C1400 800474D0
	v_mfma_scale_f32_16x16x128_f8f6f4 a[164:167], v[152:155], v[60:63], a[164:167], v193, v187 op_sel_hi:[0,0,0] cbsz:4 blgp:4// 000000005D7C: D3AC7000 000377C1 D3AD8CA4 86927998
	v_mfma_scale_f32_16x16x128_f8f6f4 a[168:171], v[156:159], v[56:59], a[168:171], v193, v187 op_sel_hi:[0,0,0] cbsz:4 blgp:4// 000000005D8C: D3AC6800 000377C1 D3AD8CA8 86A2719C
	v_mfma_scale_f32_16x16x128_f8f6f4 a[172:175], v[156:159], v[60:63], a[172:175], v193, v187 op_sel_hi:[0,0,0] cbsz:4 blgp:4// 000000005D9C: D3AC7800 000377C1 D3AD8CAC 86B2799C
	v_mfma_scale_f32_16x16x128_f8f6f4 a[160:163], v[160:163], v[64:67], a[160:163], v193, v187 op_sel_hi:[0,0,0] cbsz:4 blgp:4// 000000005DAC: D3AC6000 180377C1 D3AD8CA0 868281A0
	buffer_load_dword v190, v212, s[24:27], 0 offen            // 000000005DBC: E0501000 8006BED4
	v_mfma_scale_f32_16x16x128_f8f6f4 a[164:167], v[160:163], v[68:71], a[164:167], v193, v187 op_sel_hi:[0,0,0] cbsz:4 blgp:4// 000000005DC4: D3AC7000 180377C1 D3AD8CA4 869289A0
	v_mfma_scale_f32_16x16x128_f8f6f4 a[168:171], v[164:167], v[64:67], a[168:171], v193, v187 op_sel_hi:[0,0,0] cbsz:4 blgp:4// 000000005DD4: D3AC6800 180377C1 D3AD8CA8 86A281A4
	v_mfma_scale_f32_16x16x128_f8f6f4 a[172:175], v[164:167], v[68:71], a[172:175], v193, v187 op_sel_hi:[0,0,0] cbsz:4 blgp:4// 000000005DE4: D3AC7800 180377C1 D3AD8CAC 86B289A4
	v_mfma_scale_f32_16x16x128_f8f6f4 a[208:211], v[152:155], v[72:75], a[208:211], v193, v188 op_sel_hi:[0,0,0] cbsz:4 blgp:4// 000000005DF4: D3AC6000 000379C1 D3AD8CD0 87429198
	v_mfma_scale_f32_16x16x128_f8f6f4 a[212:215], v[152:155], v[76:79], a[212:215], v193, v188 op_sel_hi:[0,0,0] cbsz:4 blgp:4// 000000005E04: D3AC7000 000379C1 D3AD8CD4 87529998
	v_mfma_scale_f32_16x16x128_f8f6f4 a[216:219], v[156:159], v[72:75], a[216:219], v193, v188 op_sel_hi:[0,0,0] cbsz:4 blgp:4// 000000005E14: D3AC6800 000379C1 D3AD8CD8 8762919C
	v_mfma_scale_f32_16x16x128_f8f6f4 a[220:223], v[156:159], v[76:79], a[220:223], v193, v188 op_sel_hi:[0,0,0] cbsz:4 blgp:4// 000000005E24: D3AC7800 000379C1 D3AD8CDC 8772999C
	v_mfma_scale_f32_16x16x128_f8f6f4 a[208:211], v[160:163], v[80:83], a[208:211], v193, v188 op_sel_hi:[0,0,0] cbsz:4 blgp:4// 000000005E34: D3AC6000 180379C1 D3AD8CD0 8742A1A0
	v_mfma_scale_f32_16x16x128_f8f6f4 a[212:215], v[160:163], v[84:87], a[212:215], v193, v188 op_sel_hi:[0,0,0] cbsz:4 blgp:4// 000000005E44: D3AC7000 180379C1 D3AD8CD4 8752A9A0
	v_mfma_scale_f32_16x16x128_f8f6f4 a[216:219], v[164:167], v[80:83], a[216:219], v193, v188 op_sel_hi:[0,0,0] cbsz:4 blgp:4// 000000005E54: D3AC6800 180379C1 D3AD8CD8 8762A1A4
	v_mfma_scale_f32_16x16x128_f8f6f4 a[220:223], v[164:167], v[84:87], a[220:223], v193, v188 op_sel_hi:[0,0,0] cbsz:4 blgp:4// 000000005E64: D3AC7800 180379C1 D3AD8CDC 8772A9A4
	s_waitcnt vmcnt(17)                                        // 000000005E74: BF8C4F71
	v_mfma_scale_f32_16x16x128_f8f6f4 a[32:35], v[168:171], v[8:11], a[32:35], v194, v184 op_sel_hi:[0,0,0] cbsz:4 blgp:4// 000000005E78: D3AC6000 000371C2 D3AD8C20 848211A8
	s_add_u32 s63, 0x200, s60                                  // 000000005E88: 803F3CFF 00000200
	buffer_load_dwordx4 v[120:123], v209, s[16:19], 0 offen    // 000000005E90: E05C1000 800478D1
	v_mfma_scale_f32_16x16x128_f8f6f4 a[36:39], v[168:171], v[12:15], a[36:39], v194, v184 op_sel_hi:[0,0,0] cbsz:4 blgp:4// 000000005E98: D3AC7000 000371C2 D3AD8C24 849219A8
	s_cmp_lt_u32 s63, s61                                      // 000000005EA8: BF0A3D3F
	s_cselect_b32 s67, s67, 0                                  // 000000005EAC: 85438043
	v_mfma_scale_f32_16x16x128_f8f6f4 a[40:43], v[172:175], v[8:11], a[40:43], v194, v184 op_sel_hi:[0,0,0] cbsz:4 blgp:4// 000000005EB0: D3AC6800 000371C2 D3AD8C28 84A211AC
	s_cselect_b32 s69, s69, 0                                  // 000000005EC0: 85458045
	v_mfma_scale_f32_16x16x128_f8f6f4 a[44:47], v[172:175], v[12:15], a[44:47], v194, v184 op_sel_hi:[0,0,0] cbsz:4 blgp:4// 000000005EC4: D3AC7800 000371C2 D3AD8C2C 84B219AC
	v_mfma_scale_f32_16x16x128_f8f6f4 a[32:35], v[176:179], v[16:19], a[32:35], v194, v184 op_sel_hi:[0,0,0] cbsz:4 blgp:4// 000000005ED4: D3AC6000 180371C2 D3AD8C20 848221B0
	buffer_load_dwordx4 v[124:127], v210, s[16:19], 0 offen    // 000000005EE4: E05C1000 80047CD2
	v_mfma_scale_f32_16x16x128_f8f6f4 a[36:39], v[176:179], v[20:23], a[36:39], v194, v184 op_sel_hi:[0,0,0] cbsz:4 blgp:4// 000000005EEC: D3AC7000 180371C2 D3AD8C24 849229B0
	v_mfma_scale_f32_16x16x128_f8f6f4 a[40:43], v[180:183], v[16:19], a[40:43], v194, v184 op_sel_hi:[0,0,0] cbsz:4 blgp:4// 000000005EFC: D3AC6800 180371C2 D3AD8C28 84A221B4
	v_mfma_scale_f32_16x16x128_f8f6f4 a[44:47], v[180:183], v[20:23], a[44:47], v194, v184 op_sel_hi:[0,0,0] cbsz:4 blgp:4// 000000005F0C: D3AC7800 180371C2 D3AD8C2C 84B229B4
	v_mfma_scale_f32_16x16x128_f8f6f4 a[80:83], v[168:171], v[24:27], a[80:83], v194, v185 op_sel_hi:[0,0,0] cbsz:4 blgp:4// 000000005F1C: D3AC6000 000373C2 D3AD8C50 854231A8
	buffer_load_dwordx4 v[128:131], v209, s[16:19], 0 offen offset:1024// 000000005F2C: E05C1400 800480D1
	v_mfma_scale_f32_16x16x128_f8f6f4 a[84:87], v[168:171], v[28:31], a[84:87], v194, v185 op_sel_hi:[0,0,0] cbsz:4 blgp:4// 000000005F34: D3AC7000 000373C2 D3AD8C54 855239A8
	v_mfma_scale_f32_16x16x128_f8f6f4 a[88:91], v[172:175], v[24:27], a[88:91], v194, v185 op_sel_hi:[0,0,0] cbsz:4 blgp:4// 000000005F44: D3AC6800 000373C2 D3AD8C58 856231AC
	v_mfma_scale_f32_16x16x128_f8f6f4 a[92:95], v[172:175], v[28:31], a[92:95], v194, v185 op_sel_hi:[0,0,0] cbsz:4 blgp:4// 000000005F54: D3AC7800 000373C2 D3AD8C5C 857239AC
	v_mfma_scale_f32_16x16x128_f8f6f4 a[80:83], v[176:179], v[32:35], a[80:83], v194, v185 op_sel_hi:[0,0,0] cbsz:4 blgp:4// 000000005F64: D3AC6000 180373C2 D3AD8C50 854241B0
	buffer_load_dwordx4 v[132:135], v210, s[16:19], 0 offen offset:1024// 000000005F74: E05C1400 800484D2
	v_mfma_scale_f32_16x16x128_f8f6f4 a[84:87], v[176:179], v[36:39], a[84:87], v194, v185 op_sel_hi:[0,0,0] cbsz:4 blgp:4// 000000005F7C: D3AC7000 180373C2 D3AD8C54 855249B0
	v_mfma_scale_f32_16x16x128_f8f6f4 a[88:91], v[180:183], v[32:35], a[88:91], v194, v185 op_sel_hi:[0,0,0] cbsz:4 blgp:4// 000000005F8C: D3AC6800 180373C2 D3AD8C58 856241B4
	v_mfma_scale_f32_16x16x128_f8f6f4 a[92:95], v[180:183], v[36:39], a[92:95], v194, v185 op_sel_hi:[0,0,0] cbsz:4 blgp:4// 000000005F9C: D3AC7800 180373C2 D3AD8C5C 857249B4
	v_mfma_scale_f32_16x16x128_f8f6f4 a[128:131], v[168:171], v[40:43], a[128:131], v194, v186 op_sel_hi:[0,0,0] cbsz:4 blgp:4// 000000005FAC: D3AC6000 000375C2 D3AD8C80 860251A8
	buffer_load_dword v191, v213, s[24:27], 0 offen            // 000000005FBC: E0501000 8006BFD5
	v_mfma_scale_f32_16x16x128_f8f6f4 a[132:135], v[168:171], v[44:47], a[132:135], v194, v186 op_sel_hi:[0,0,0] cbsz:4 blgp:4// 000000005FC4: D3AC7000 000375C2 D3AD8C84 861259A8
	s_add_u32 s16, s16, s67                                    // 000000005FD4: 80104310
	s_addc_u32 s17, 0, s17                                     // 000000005FD8: 82111180
	v_mfma_scale_f32_16x16x128_f8f6f4 a[136:139], v[172:175], v[40:43], a[136:139], v194, v186 op_sel_hi:[0,0,0] cbsz:4 blgp:4// 000000005FDC: D3AC6800 000375C2 D3AD8C88 862251AC
	s_sub_u32 s18, s18, s67                                    // 000000005FEC: 80924312
	s_add_u32 s24, s24, s69                                    // 000000005FF0: 80184518
	v_mfma_scale_f32_16x16x128_f8f6f4 a[140:143], v[172:175], v[44:47], a[140:143], v194, v186 op_sel_hi:[0,0,0] cbsz:4 blgp:4// 000000005FF4: D3AC7800 000375C2 D3AD8C8C 863259AC
	s_addc_u32 s25, 0, s25                                     // 000000006004: 82191980
	s_sub_u32 s26, s26, s69                                    // 000000006008: 809A451A
	v_mfma_scale_f32_16x16x128_f8f6f4 a[128:131], v[176:179], v[48:51], a[128:131], v194, v186 op_sel_hi:[0,0,0] cbsz:4 blgp:4// 00000000600C: D3AC6000 180375C2 D3AD8C80 860261B0
	s_addk_i32 s60, 0x100                                      // 00000000601C: B73C0100
	s_cmp_lt_i32 s60, s61                                      // 000000006020: BF043D3C
	v_mfma_scale_f32_16x16x128_f8f6f4 a[132:135], v[176:179], v[52:55], a[132:135], v194, v186 op_sel_hi:[0,0,0] cbsz:4 blgp:4// 000000006024: D3AC7000 180375C2 D3AD8C84 861269B0
	v_mfma_scale_f32_16x16x128_f8f6f4 a[136:139], v[180:183], v[48:51], a[136:139], v194, v186 op_sel_hi:[0,0,0] cbsz:4 blgp:4// 000000006034: D3AC6800 180375C2 D3AD8C88 862261B4
	v_mfma_scale_f32_16x16x128_f8f6f4 a[140:143], v[180:183], v[52:55], a[140:143], v194, v186 op_sel_hi:[0,0,0] cbsz:4 blgp:4// 000000006044: D3AC7800 180375C2 D3AD8C8C 863269B4
	s_waitcnt vmcnt(18)                                        // 000000006054: BF8C4F72
	s_barrier                                                  // 000000006058: BF8A0000
	v_mfma_scale_f32_16x16x128_f8f6f4 a[176:179], v[168:171], v[56:59], a[176:179], v194, v187 op_sel_hi:[0,0,0] cbsz:4 blgp:4// 00000000605C: D3AC6000 000377C2 D3AD8CB0 86C271A8
	v_mfma_scale_f32_16x16x128_f8f6f4 a[180:183], v[168:171], v[60:63], a[180:183], v194, v187 op_sel_hi:[0,0,0] cbsz:4 blgp:4// 00000000606C: D3AC7000 000377C2 D3AD8CB4 86D279A8
	ds_read_b128 v[8:11], v200                                 // 00000000607C: D9FE0000 080000C8
	v_mfma_scale_f32_16x16x128_f8f6f4 a[184:187], v[172:175], v[56:59], a[184:187], v194, v187 op_sel_hi:[0,0,0] cbsz:4 blgp:4// 000000006084: D3AC6800 000377C2 D3AD8CB8 86E271AC
	v_mfma_scale_f32_16x16x128_f8f6f4 a[188:191], v[172:175], v[60:63], a[188:191], v194, v187 op_sel_hi:[0,0,0] cbsz:4 blgp:4// 000000006094: D3AC7800 000377C2 D3AD8CBC 86F279AC
	ds_read_b128 v[16:19], v200 offset:64                      // 0000000060A4: D9FE0040 100000C8
	v_mfma_scale_f32_16x16x128_f8f6f4 a[176:179], v[176:179], v[64:67], a[176:179], v194, v187 op_sel_hi:[0,0,0] cbsz:4 blgp:4// 0000000060AC: D3AC6000 180377C2 D3AD8CB0 86C281B0
	v_mfma_scale_f32_16x16x128_f8f6f4 a[180:183], v[176:179], v[68:71], a[180:183], v194, v187 op_sel_hi:[0,0,0] cbsz:4 blgp:4// 0000000060BC: D3AC7000 180377C2 D3AD8CB4 86D289B0
	ds_read_b128 v[12:15], v200 offset:512                     // 0000000060CC: D9FE0200 0C0000C8
	v_mfma_scale_f32_16x16x128_f8f6f4 a[184:187], v[180:183], v[64:67], a[184:187], v194, v187 op_sel_hi:[0,0,0] cbsz:4 blgp:4// 0000000060D4: D3AC6800 180377C2 D3AD8CB8 86E281B4
	v_mfma_scale_f32_16x16x128_f8f6f4 a[188:191], v[180:183], v[68:71], a[188:191], v194, v187 op_sel_hi:[0,0,0] cbsz:4 blgp:4// 0000000060E4: D3AC7800 180377C2 D3AD8CBC 86F289B4
	ds_read_b128 v[20:23], v200 offset:576                     // 0000000060F4: D9FE0240 140000C8
	ds_read_b32 v184, v204                                     // 0000000060FC: D86C0000 B80000CC
	v_mfma_scale_f32_16x16x128_f8f6f4 a[224:227], v[168:171], v[72:75], a[224:227], v194, v188 op_sel_hi:[0,0,0] cbsz:4 blgp:4// 000000006104: D3AC6000 000379C2 D3AD8CE0 878291A8
	v_mfma_scale_f32_16x16x128_f8f6f4 a[228:231], v[168:171], v[76:79], a[228:231], v194, v188 op_sel_hi:[0,0,0] cbsz:4 blgp:4// 000000006114: D3AC7000 000379C2 D3AD8CE4 879299A8
	ds_read_b128 v[24:27], v200 offset:4224                    // 000000006124: D9FE1080 180000C8
	v_mfma_scale_f32_16x16x128_f8f6f4 a[232:235], v[172:175], v[72:75], a[232:235], v194, v188 op_sel_hi:[0,0,0] cbsz:4 blgp:4// 00000000612C: D3AC6800 000379C2 D3AD8CE8 87A291AC
	v_mfma_scale_f32_16x16x128_f8f6f4 a[236:239], v[172:175], v[76:79], a[236:239], v194, v188 op_sel_hi:[0,0,0] cbsz:4 blgp:4// 00000000613C: D3AC7800 000379C2 D3AD8CEC 87B299AC
	ds_read_b128 v[32:35], v200 offset:4288                    // 00000000614C: D9FE10C0 200000C8
	v_mfma_scale_f32_16x16x128_f8f6f4 a[224:227], v[176:179], v[80:83], a[224:227], v194, v188 op_sel_hi:[0,0,0] cbsz:4 blgp:4// 000000006154: D3AC6000 180379C2 D3AD8CE0 8782A1B0
	v_mfma_scale_f32_16x16x128_f8f6f4 a[228:231], v[176:179], v[84:87], a[228:231], v194, v188 op_sel_hi:[0,0,0] cbsz:4 blgp:4// 000000006164: D3AC7000 180379C2 D3AD8CE4 8792A9B0
	ds_read_b128 v[28:31], v200 offset:4736                    // 000000006174: D9FE1280 1C0000C8
	v_mfma_scale_f32_16x16x128_f8f6f4 a[232:235], v[180:183], v[80:83], a[232:235], v194, v188 op_sel_hi:[0,0,0] cbsz:4 blgp:4// 00000000617C: D3AC6800 180379C2 D3AD8CE8 87A2A1B4
	v_mfma_scale_f32_16x16x128_f8f6f4 a[236:239], v[180:183], v[84:87], a[236:239], v194, v188 op_sel_hi:[0,0,0] cbsz:4 blgp:4// 00000000618C: D3AC7800 180379C2 D3AD8CEC 87B2A9B4
	ds_read_b128 v[36:39], v200 offset:4800                    // 00000000619C: D9FE12C0 240000C8
	ds_read_b32 v185, v204 offset:256                          // 0000000061A4: D86C0100 B90000CC
	s_cbranch_scc0 label_0D6D                                  // 0000000061AC: BF840001
	s_branch label_0890                                        // 0000000061B0: BF82FB23

00000000000061b4 <label_0D6D>:
	s_waitcnt lgkmcnt(0)                                       // 0000000061B4: BF8CC07F
	s_mul_i32 s62, s47, 0x180                                  // 0000000061B8: 923EFF2F 00000180
	s_mul_i32 s63, s46, 0x60                                   // 0000000061C0: 923FFF2E 00000060
	s_add_u32 s60, s62, s63                                    // 0000000061C8: 803C3F3E
	s_add_u32 s62, s60, 0x60                                   // 0000000061CC: 803EFF3C 00000060
	s_cmp_lt_i32 s44, s62                                      // 0000000061D4: BF043E2C
	s_cbranch_scc1 label_113D                                  // 0000000061D8: BF8503C6
	s_mul_i32 s62, s36, 16                                     // 0000000061DC: 923E9024
	v_add_u32_e32 v218, 0, v214                                // 0000000061E0: 69B5AC80
	v_accvgpr_read_b32 v8, a0                                  // 0000000061E4: D3D84008 18000100
	v_accvgpr_read_b32 v9, a1                                  // 0000000061EC: D3D84009 18000101
	v_accvgpr_read_b32 v10, a2                                 // 0000000061F4: D3D8400A 18000102
	v_accvgpr_read_b32 v11, a3                                 // 0000000061FC: D3D8400B 18000103
	v_accvgpr_read_b32 v12, a8                                 // 000000006204: D3D8400C 18000108
	v_accvgpr_read_b32 v13, a9                                 // 00000000620C: D3D8400D 18000109
	v_accvgpr_read_b32 v14, a10                                // 000000006214: D3D8400E 1800010A
	v_accvgpr_read_b32 v15, a11                                // 00000000621C: D3D8400F 1800010B
	v_cvt_pk_bf16_f32 v16, v8, v9                              // 000000006224: D2680010 00021308
	v_cvt_pk_bf16_f32 v17, v10, v11                            // 00000000622C: D2680011 0002170A
	v_cvt_pk_bf16_f32 v18, v12, v13                            // 000000006234: D2680012 00021B0C
	v_cvt_pk_bf16_f32 v19, v14, v15                            // 00000000623C: D2680013 00021F0E
	s_nop 1                                                    // 000000006244: BF800001
	v_permlane16_swap_b32_e32 v16, v18                         // 000000006248: 7E20B312
	s_nop 1                                                    // 00000000624C: BF800001
	v_permlane16_swap_b32_e32 v17, v19                         // 000000006250: 7E22B313
	s_nop 1                                                    // 000000006254: BF800001
	buffer_store_dwordx4 v[16:19], v218, s[4:7], 0 offen       // 000000006258: E07C1000 800110DA
	v_add_u32_e32 v218, s62, v218                              // 000000006260: 69B5B43E
	v_accvgpr_read_b32 v8, a4                                  // 000000006264: D3D84008 18000104
	v_accvgpr_read_b32 v9, a5                                  // 00000000626C: D3D84009 18000105
	v_accvgpr_read_b32 v10, a6                                 // 000000006274: D3D8400A 18000106
	v_accvgpr_read_b32 v11, a7                                 // 00000000627C: D3D8400B 18000107
	v_accvgpr_read_b32 v12, a12                                // 000000006284: D3D8400C 1800010C
	v_accvgpr_read_b32 v13, a13                                // 00000000628C: D3D8400D 1800010D
	v_accvgpr_read_b32 v14, a14                                // 000000006294: D3D8400E 1800010E
	v_accvgpr_read_b32 v15, a15                                // 00000000629C: D3D8400F 1800010F
	v_cvt_pk_bf16_f32 v16, v8, v9                              // 0000000062A4: D2680010 00021308
	v_cvt_pk_bf16_f32 v17, v10, v11                            // 0000000062AC: D2680011 0002170A
	v_cvt_pk_bf16_f32 v18, v12, v13                            // 0000000062B4: D2680012 00021B0C
	v_cvt_pk_bf16_f32 v19, v14, v15                            // 0000000062BC: D2680013 00021F0E
	s_nop 1                                                    // 0000000062C4: BF800001
	v_permlane16_swap_b32_e32 v16, v18                         // 0000000062C8: 7E20B312
	s_nop 1                                                    // 0000000062CC: BF800001
	v_permlane16_swap_b32_e32 v17, v19                         // 0000000062D0: 7E22B313
	s_nop 1                                                    // 0000000062D4: BF800001
	buffer_store_dwordx4 v[16:19], v218, s[4:7], 0 offen       // 0000000062D8: E07C1000 800110DA
	v_add_u32_e32 v218, s62, v218                              // 0000000062E0: 69B5B43E
	v_accvgpr_read_b32 v8, a48                                 // 0000000062E4: D3D84008 18000130
	v_accvgpr_read_b32 v9, a49                                 // 0000000062EC: D3D84009 18000131
	v_accvgpr_read_b32 v10, a50                                // 0000000062F4: D3D8400A 18000132
	v_accvgpr_read_b32 v11, a51                                // 0000000062FC: D3D8400B 18000133
	v_accvgpr_read_b32 v12, a56                                // 000000006304: D3D8400C 18000138
	v_accvgpr_read_b32 v13, a57                                // 00000000630C: D3D8400D 18000139
	v_accvgpr_read_b32 v14, a58                                // 000000006314: D3D8400E 1800013A
	v_accvgpr_read_b32 v15, a59                                // 00000000631C: D3D8400F 1800013B
	v_cvt_pk_bf16_f32 v16, v8, v9                              // 000000006324: D2680010 00021308
	v_cvt_pk_bf16_f32 v17, v10, v11                            // 00000000632C: D2680011 0002170A
	v_cvt_pk_bf16_f32 v18, v12, v13                            // 000000006334: D2680012 00021B0C
	v_cvt_pk_bf16_f32 v19, v14, v15                            // 00000000633C: D2680013 00021F0E
	s_nop 1                                                    // 000000006344: BF800001
	v_permlane16_swap_b32_e32 v16, v18                         // 000000006348: 7E20B312
	s_nop 1                                                    // 00000000634C: BF800001
	v_permlane16_swap_b32_e32 v17, v19                         // 000000006350: 7E22B313
	s_nop 1                                                    // 000000006354: BF800001
	buffer_store_dwordx4 v[16:19], v218, s[4:7], 0 offen       // 000000006358: E07C1000 800110DA
	v_add_u32_e32 v218, s62, v218                              // 000000006360: 69B5B43E
	v_accvgpr_read_b32 v8, a52                                 // 000000006364: D3D84008 18000134
	v_accvgpr_read_b32 v9, a53                                 // 00000000636C: D3D84009 18000135
	v_accvgpr_read_b32 v10, a54                                // 000000006374: D3D8400A 18000136
	v_accvgpr_read_b32 v11, a55                                // 00000000637C: D3D8400B 18000137
	v_accvgpr_read_b32 v12, a60                                // 000000006384: D3D8400C 1800013C
	v_accvgpr_read_b32 v13, a61                                // 00000000638C: D3D8400D 1800013D
	v_accvgpr_read_b32 v14, a62                                // 000000006394: D3D8400E 1800013E
	v_accvgpr_read_b32 v15, a63                                // 00000000639C: D3D8400F 1800013F
	v_cvt_pk_bf16_f32 v16, v8, v9                              // 0000000063A4: D2680010 00021308
	v_cvt_pk_bf16_f32 v17, v10, v11                            // 0000000063AC: D2680011 0002170A
	v_cvt_pk_bf16_f32 v18, v12, v13                            // 0000000063B4: D2680012 00021B0C
	v_cvt_pk_bf16_f32 v19, v14, v15                            // 0000000063BC: D2680013 00021F0E
	s_nop 1                                                    // 0000000063C4: BF800001
	v_permlane16_swap_b32_e32 v16, v18                         // 0000000063C8: 7E20B312
	s_nop 1                                                    // 0000000063CC: BF800001
	v_permlane16_swap_b32_e32 v17, v19                         // 0000000063D0: 7E22B313
	s_nop 1                                                    // 0000000063D4: BF800001
	buffer_store_dwordx4 v[16:19], v218, s[4:7], 0 offen       // 0000000063D8: E07C1000 800110DA
	v_add_u32_e32 v218, s62, v218                              // 0000000063E0: 69B5B43E
	v_accvgpr_read_b32 v8, a96                                 // 0000000063E4: D3D84008 18000160
	v_accvgpr_read_b32 v9, a97                                 // 0000000063EC: D3D84009 18000161
	v_accvgpr_read_b32 v10, a98                                // 0000000063F4: D3D8400A 18000162
	v_accvgpr_read_b32 v11, a99                                // 0000000063FC: D3D8400B 18000163
	v_accvgpr_read_b32 v12, a104                               // 000000006404: D3D8400C 18000168
	v_accvgpr_read_b32 v13, a105                               // 00000000640C: D3D8400D 18000169
	v_accvgpr_read_b32 v14, a106                               // 000000006414: D3D8400E 1800016A
	v_accvgpr_read_b32 v15, a107                               // 00000000641C: D3D8400F 1800016B
	v_cvt_pk_bf16_f32 v16, v8, v9                              // 000000006424: D2680010 00021308
	v_cvt_pk_bf16_f32 v17, v10, v11                            // 00000000642C: D2680011 0002170A
	v_cvt_pk_bf16_f32 v18, v12, v13                            // 000000006434: D2680012 00021B0C
	v_cvt_pk_bf16_f32 v19, v14, v15                            // 00000000643C: D2680013 00021F0E
	s_nop 1                                                    // 000000006444: BF800001
	v_permlane16_swap_b32_e32 v16, v18                         // 000000006448: 7E20B312
	s_nop 1                                                    // 00000000644C: BF800001
	v_permlane16_swap_b32_e32 v17, v19                         // 000000006450: 7E22B313
	s_nop 1                                                    // 000000006454: BF800001
	buffer_store_dwordx4 v[16:19], v218, s[4:7], 0 offen       // 000000006458: E07C1000 800110DA
	v_add_u32_e32 v218, s62, v218                              // 000000006460: 69B5B43E
	v_accvgpr_read_b32 v8, a100                                // 000000006464: D3D84008 18000164
	v_accvgpr_read_b32 v9, a101                                // 00000000646C: D3D84009 18000165
	v_accvgpr_read_b32 v10, a102                               // 000000006474: D3D8400A 18000166
	v_accvgpr_read_b32 v11, a103                               // 00000000647C: D3D8400B 18000167
	v_accvgpr_read_b32 v12, a108                               // 000000006484: D3D8400C 1800016C
	v_accvgpr_read_b32 v13, a109                               // 00000000648C: D3D8400D 1800016D
	v_accvgpr_read_b32 v14, a110                               // 000000006494: D3D8400E 1800016E
	v_accvgpr_read_b32 v15, a111                               // 00000000649C: D3D8400F 1800016F
	v_cvt_pk_bf16_f32 v16, v8, v9                              // 0000000064A4: D2680010 00021308
	v_cvt_pk_bf16_f32 v17, v10, v11                            // 0000000064AC: D2680011 0002170A
	v_cvt_pk_bf16_f32 v18, v12, v13                            // 0000000064B4: D2680012 00021B0C
	v_cvt_pk_bf16_f32 v19, v14, v15                            // 0000000064BC: D2680013 00021F0E
	s_nop 1                                                    // 0000000064C4: BF800001
	v_permlane16_swap_b32_e32 v16, v18                         // 0000000064C8: 7E20B312
	s_nop 1                                                    // 0000000064CC: BF800001
	v_permlane16_swap_b32_e32 v17, v19                         // 0000000064D0: 7E22B313
	s_nop 1                                                    // 0000000064D4: BF800001
	buffer_store_dwordx4 v[16:19], v218, s[4:7], 0 offen       // 0000000064D8: E07C1000 800110DA
	v_add_u32_e32 v218, s62, v218                              // 0000000064E0: 69B5B43E
	v_accvgpr_read_b32 v8, a144                                // 0000000064E4: D3D84008 18000190
	v_accvgpr_read_b32 v9, a145                                // 0000000064EC: D3D84009 18000191
	v_accvgpr_read_b32 v10, a146                               // 0000000064F4: D3D8400A 18000192
	v_accvgpr_read_b32 v11, a147                               // 0000000064FC: D3D8400B 18000193
	v_accvgpr_read_b32 v12, a152                               // 000000006504: D3D8400C 18000198
	v_accvgpr_read_b32 v13, a153                               // 00000000650C: D3D8400D 18000199
	v_accvgpr_read_b32 v14, a154                               // 000000006514: D3D8400E 1800019A
	v_accvgpr_read_b32 v15, a155                               // 00000000651C: D3D8400F 1800019B
	v_cvt_pk_bf16_f32 v16, v8, v9                              // 000000006524: D2680010 00021308
	v_cvt_pk_bf16_f32 v17, v10, v11                            // 00000000652C: D2680011 0002170A
	v_cvt_pk_bf16_f32 v18, v12, v13                            // 000000006534: D2680012 00021B0C
	v_cvt_pk_bf16_f32 v19, v14, v15                            // 00000000653C: D2680013 00021F0E
	s_nop 1                                                    // 000000006544: BF800001
	v_permlane16_swap_b32_e32 v16, v18                         // 000000006548: 7E20B312
	s_nop 1                                                    // 00000000654C: BF800001
	v_permlane16_swap_b32_e32 v17, v19                         // 000000006550: 7E22B313
	s_nop 1                                                    // 000000006554: BF800001
	buffer_store_dwordx4 v[16:19], v218, s[4:7], 0 offen       // 000000006558: E07C1000 800110DA
	v_add_u32_e32 v218, s62, v218                              // 000000006560: 69B5B43E
	v_accvgpr_read_b32 v8, a148                                // 000000006564: D3D84008 18000194
	v_accvgpr_read_b32 v9, a149                                // 00000000656C: D3D84009 18000195
	v_accvgpr_read_b32 v10, a150                               // 000000006574: D3D8400A 18000196
	v_accvgpr_read_b32 v11, a151                               // 00000000657C: D3D8400B 18000197
	v_accvgpr_read_b32 v12, a156                               // 000000006584: D3D8400C 1800019C
	v_accvgpr_read_b32 v13, a157                               // 00000000658C: D3D8400D 1800019D
	v_accvgpr_read_b32 v14, a158                               // 000000006594: D3D8400E 1800019E
	v_accvgpr_read_b32 v15, a159                               // 00000000659C: D3D8400F 1800019F
	v_cvt_pk_bf16_f32 v16, v8, v9                              // 0000000065A4: D2680010 00021308
	v_cvt_pk_bf16_f32 v17, v10, v11                            // 0000000065AC: D2680011 0002170A
	v_cvt_pk_bf16_f32 v18, v12, v13                            // 0000000065B4: D2680012 00021B0C
	v_cvt_pk_bf16_f32 v19, v14, v15                            // 0000000065BC: D2680013 00021F0E
	s_nop 1                                                    // 0000000065C4: BF800001
	v_permlane16_swap_b32_e32 v16, v18                         // 0000000065C8: 7E20B312
	s_nop 1                                                    // 0000000065CC: BF800001
	v_permlane16_swap_b32_e32 v17, v19                         // 0000000065D0: 7E22B313
	s_nop 1                                                    // 0000000065D4: BF800001
	buffer_store_dwordx4 v[16:19], v218, s[4:7], 0 offen       // 0000000065D8: E07C1000 800110DA
	v_add_u32_e32 v218, s62, v218                              // 0000000065E0: 69B5B43E
	v_accvgpr_read_b32 v8, a192                                // 0000000065E4: D3D84008 180001C0
	v_accvgpr_read_b32 v9, a193                                // 0000000065EC: D3D84009 180001C1
	v_accvgpr_read_b32 v10, a194                               // 0000000065F4: D3D8400A 180001C2
	v_accvgpr_read_b32 v11, a195                               // 0000000065FC: D3D8400B 180001C3
	v_accvgpr_read_b32 v12, a200                               // 000000006604: D3D8400C 180001C8
	v_accvgpr_read_b32 v13, a201                               // 00000000660C: D3D8400D 180001C9
	v_accvgpr_read_b32 v14, a202                               // 000000006614: D3D8400E 180001CA
	v_accvgpr_read_b32 v15, a203                               // 00000000661C: D3D8400F 180001CB
	v_cvt_pk_bf16_f32 v16, v8, v9                              // 000000006624: D2680010 00021308
	v_cvt_pk_bf16_f32 v17, v10, v11                            // 00000000662C: D2680011 0002170A
	v_cvt_pk_bf16_f32 v18, v12, v13                            // 000000006634: D2680012 00021B0C
	v_cvt_pk_bf16_f32 v19, v14, v15                            // 00000000663C: D2680013 00021F0E
	s_nop 1                                                    // 000000006644: BF800001
	v_permlane16_swap_b32_e32 v16, v18                         // 000000006648: 7E20B312
	s_nop 1                                                    // 00000000664C: BF800001
	v_permlane16_swap_b32_e32 v17, v19                         // 000000006650: 7E22B313
	s_nop 1                                                    // 000000006654: BF800001
	buffer_store_dwordx4 v[16:19], v218, s[4:7], 0 offen       // 000000006658: E07C1000 800110DA
	v_add_u32_e32 v218, s62, v218                              // 000000006660: 69B5B43E
	v_accvgpr_read_b32 v8, a196                                // 000000006664: D3D84008 180001C4
	v_accvgpr_read_b32 v9, a197                                // 00000000666C: D3D84009 180001C5
	v_accvgpr_read_b32 v10, a198                               // 000000006674: D3D8400A 180001C6
	v_accvgpr_read_b32 v11, a199                               // 00000000667C: D3D8400B 180001C7
	v_accvgpr_read_b32 v12, a204                               // 000000006684: D3D8400C 180001CC
	v_accvgpr_read_b32 v13, a205                               // 00000000668C: D3D8400D 180001CD
	v_accvgpr_read_b32 v14, a206                               // 000000006694: D3D8400E 180001CE
	v_accvgpr_read_b32 v15, a207                               // 00000000669C: D3D8400F 180001CF
	v_cvt_pk_bf16_f32 v16, v8, v9                              // 0000000066A4: D2680010 00021308
	v_cvt_pk_bf16_f32 v17, v10, v11                            // 0000000066AC: D2680011 0002170A
	v_cvt_pk_bf16_f32 v18, v12, v13                            // 0000000066B4: D2680012 00021B0C
	v_cvt_pk_bf16_f32 v19, v14, v15                            // 0000000066BC: D2680013 00021F0E
	s_nop 1                                                    // 0000000066C4: BF800001
	v_permlane16_swap_b32_e32 v16, v18                         // 0000000066C8: 7E20B312
	s_nop 1                                                    // 0000000066CC: BF800001
	v_permlane16_swap_b32_e32 v17, v19                         // 0000000066D0: 7E22B313
	s_nop 1                                                    // 0000000066D4: BF800001
	buffer_store_dwordx4 v[16:19], v218, s[4:7], 0 offen       // 0000000066D8: E07C1000 800110DA
	v_add_u32_e32 v218, s62, v218                              // 0000000066E0: 69B5B43E
	v_add_u32_e32 v218, 64, v214                               // 0000000066E4: 69B5ACC0
	v_accvgpr_read_b32 v8, a16                                 // 0000000066E8: D3D84008 18000110
	v_accvgpr_read_b32 v9, a17                                 // 0000000066F0: D3D84009 18000111
	v_accvgpr_read_b32 v10, a18                                // 0000000066F8: D3D8400A 18000112
	v_accvgpr_read_b32 v11, a19                                // 000000006700: D3D8400B 18000113
	v_accvgpr_read_b32 v12, a24                                // 000000006708: D3D8400C 18000118
	v_accvgpr_read_b32 v13, a25                                // 000000006710: D3D8400D 18000119
	v_accvgpr_read_b32 v14, a26                                // 000000006718: D3D8400E 1800011A
	v_accvgpr_read_b32 v15, a27                                // 000000006720: D3D8400F 1800011B
	v_cvt_pk_bf16_f32 v16, v8, v9                              // 000000006728: D2680010 00021308
	v_cvt_pk_bf16_f32 v17, v10, v11                            // 000000006730: D2680011 0002170A
	v_cvt_pk_bf16_f32 v18, v12, v13                            // 000000006738: D2680012 00021B0C
	v_cvt_pk_bf16_f32 v19, v14, v15                            // 000000006740: D2680013 00021F0E
	s_nop 1                                                    // 000000006748: BF800001
	v_permlane16_swap_b32_e32 v16, v18                         // 00000000674C: 7E20B312
	s_nop 1                                                    // 000000006750: BF800001
	v_permlane16_swap_b32_e32 v17, v19                         // 000000006754: 7E22B313
	s_nop 1                                                    // 000000006758: BF800001
	buffer_store_dwordx4 v[16:19], v218, s[4:7], 0 offen       // 00000000675C: E07C1000 800110DA
	v_add_u32_e32 v218, s62, v218                              // 000000006764: 69B5B43E
	v_accvgpr_read_b32 v8, a20                                 // 000000006768: D3D84008 18000114
	v_accvgpr_read_b32 v9, a21                                 // 000000006770: D3D84009 18000115
	v_accvgpr_read_b32 v10, a22                                // 000000006778: D3D8400A 18000116
	v_accvgpr_read_b32 v11, a23                                // 000000006780: D3D8400B 18000117
	v_accvgpr_read_b32 v12, a28                                // 000000006788: D3D8400C 1800011C
	v_accvgpr_read_b32 v13, a29                                // 000000006790: D3D8400D 1800011D
	v_accvgpr_read_b32 v14, a30                                // 000000006798: D3D8400E 1800011E
	v_accvgpr_read_b32 v15, a31                                // 0000000067A0: D3D8400F 1800011F
	v_cvt_pk_bf16_f32 v16, v8, v9                              // 0000000067A8: D2680010 00021308
	v_cvt_pk_bf16_f32 v17, v10, v11                            // 0000000067B0: D2680011 0002170A
	v_cvt_pk_bf16_f32 v18, v12, v13                            // 0000000067B8: D2680012 00021B0C
	v_cvt_pk_bf16_f32 v19, v14, v15                            // 0000000067C0: D2680013 00021F0E
	s_nop 1                                                    // 0000000067C8: BF800001
	v_permlane16_swap_b32_e32 v16, v18                         // 0000000067CC: 7E20B312
	s_nop 1                                                    // 0000000067D0: BF800001
	v_permlane16_swap_b32_e32 v17, v19                         // 0000000067D4: 7E22B313
	s_nop 1                                                    // 0000000067D8: BF800001
	buffer_store_dwordx4 v[16:19], v218, s[4:7], 0 offen       // 0000000067DC: E07C1000 800110DA
	v_add_u32_e32 v218, s62, v218                              // 0000000067E4: 69B5B43E
	v_accvgpr_read_b32 v8, a64                                 // 0000000067E8: D3D84008 18000140
	v_accvgpr_read_b32 v9, a65                                 // 0000000067F0: D3D84009 18000141
	v_accvgpr_read_b32 v10, a66                                // 0000000067F8: D3D8400A 18000142
	v_accvgpr_read_b32 v11, a67                                // 000000006800: D3D8400B 18000143
	v_accvgpr_read_b32 v12, a72                                // 000000006808: D3D8400C 18000148
	v_accvgpr_read_b32 v13, a73                                // 000000006810: D3D8400D 18000149
	v_accvgpr_read_b32 v14, a74                                // 000000006818: D3D8400E 1800014A
	v_accvgpr_read_b32 v15, a75                                // 000000006820: D3D8400F 1800014B
	v_cvt_pk_bf16_f32 v16, v8, v9                              // 000000006828: D2680010 00021308
	v_cvt_pk_bf16_f32 v17, v10, v11                            // 000000006830: D2680011 0002170A
	v_cvt_pk_bf16_f32 v18, v12, v13                            // 000000006838: D2680012 00021B0C
	v_cvt_pk_bf16_f32 v19, v14, v15                            // 000000006840: D2680013 00021F0E
	s_nop 1                                                    // 000000006848: BF800001
	v_permlane16_swap_b32_e32 v16, v18                         // 00000000684C: 7E20B312
	s_nop 1                                                    // 000000006850: BF800001
	v_permlane16_swap_b32_e32 v17, v19                         // 000000006854: 7E22B313
	s_nop 1                                                    // 000000006858: BF800001
	buffer_store_dwordx4 v[16:19], v218, s[4:7], 0 offen       // 00000000685C: E07C1000 800110DA
	v_add_u32_e32 v218, s62, v218                              // 000000006864: 69B5B43E
	v_accvgpr_read_b32 v8, a68                                 // 000000006868: D3D84008 18000144
	v_accvgpr_read_b32 v9, a69                                 // 000000006870: D3D84009 18000145
	v_accvgpr_read_b32 v10, a70                                // 000000006878: D3D8400A 18000146
	v_accvgpr_read_b32 v11, a71                                // 000000006880: D3D8400B 18000147
	v_accvgpr_read_b32 v12, a76                                // 000000006888: D3D8400C 1800014C
	v_accvgpr_read_b32 v13, a77                                // 000000006890: D3D8400D 1800014D
	v_accvgpr_read_b32 v14, a78                                // 000000006898: D3D8400E 1800014E
	v_accvgpr_read_b32 v15, a79                                // 0000000068A0: D3D8400F 1800014F
	v_cvt_pk_bf16_f32 v16, v8, v9                              // 0000000068A8: D2680010 00021308
	v_cvt_pk_bf16_f32 v17, v10, v11                            // 0000000068B0: D2680011 0002170A
	v_cvt_pk_bf16_f32 v18, v12, v13                            // 0000000068B8: D2680012 00021B0C
	v_cvt_pk_bf16_f32 v19, v14, v15                            // 0000000068C0: D2680013 00021F0E
	s_nop 1                                                    // 0000000068C8: BF800001
	v_permlane16_swap_b32_e32 v16, v18                         // 0000000068CC: 7E20B312
	s_nop 1                                                    // 0000000068D0: BF800001
	v_permlane16_swap_b32_e32 v17, v19                         // 0000000068D4: 7E22B313
	s_nop 1                                                    // 0000000068D8: BF800001
	buffer_store_dwordx4 v[16:19], v218, s[4:7], 0 offen       // 0000000068DC: E07C1000 800110DA
	v_add_u32_e32 v218, s62, v218                              // 0000000068E4: 69B5B43E
	v_accvgpr_read_b32 v8, a112                                // 0000000068E8: D3D84008 18000170
	v_accvgpr_read_b32 v9, a113                                // 0000000068F0: D3D84009 18000171
	v_accvgpr_read_b32 v10, a114                               // 0000000068F8: D3D8400A 18000172
	v_accvgpr_read_b32 v11, a115                               // 000000006900: D3D8400B 18000173
	v_accvgpr_read_b32 v12, a120                               // 000000006908: D3D8400C 18000178
	v_accvgpr_read_b32 v13, a121                               // 000000006910: D3D8400D 18000179
	v_accvgpr_read_b32 v14, a122                               // 000000006918: D3D8400E 1800017A
	v_accvgpr_read_b32 v15, a123                               // 000000006920: D3D8400F 1800017B
	v_cvt_pk_bf16_f32 v16, v8, v9                              // 000000006928: D2680010 00021308
	v_cvt_pk_bf16_f32 v17, v10, v11                            // 000000006930: D2680011 0002170A
	v_cvt_pk_bf16_f32 v18, v12, v13                            // 000000006938: D2680012 00021B0C
	v_cvt_pk_bf16_f32 v19, v14, v15                            // 000000006940: D2680013 00021F0E
	s_nop 1                                                    // 000000006948: BF800001
	v_permlane16_swap_b32_e32 v16, v18                         // 00000000694C: 7E20B312
	s_nop 1                                                    // 000000006950: BF800001
	v_permlane16_swap_b32_e32 v17, v19                         // 000000006954: 7E22B313
	s_nop 1                                                    // 000000006958: BF800001
	buffer_store_dwordx4 v[16:19], v218, s[4:7], 0 offen       // 00000000695C: E07C1000 800110DA
	v_add_u32_e32 v218, s62, v218                              // 000000006964: 69B5B43E
	v_accvgpr_read_b32 v8, a116                                // 000000006968: D3D84008 18000174
	v_accvgpr_read_b32 v9, a117                                // 000000006970: D3D84009 18000175
	v_accvgpr_read_b32 v10, a118                               // 000000006978: D3D8400A 18000176
	v_accvgpr_read_b32 v11, a119                               // 000000006980: D3D8400B 18000177
	v_accvgpr_read_b32 v12, a124                               // 000000006988: D3D8400C 1800017C
	v_accvgpr_read_b32 v13, a125                               // 000000006990: D3D8400D 1800017D
	v_accvgpr_read_b32 v14, a126                               // 000000006998: D3D8400E 1800017E
	v_accvgpr_read_b32 v15, a127                               // 0000000069A0: D3D8400F 1800017F
	v_cvt_pk_bf16_f32 v16, v8, v9                              // 0000000069A8: D2680010 00021308
	v_cvt_pk_bf16_f32 v17, v10, v11                            // 0000000069B0: D2680011 0002170A
	v_cvt_pk_bf16_f32 v18, v12, v13                            // 0000000069B8: D2680012 00021B0C
	v_cvt_pk_bf16_f32 v19, v14, v15                            // 0000000069C0: D2680013 00021F0E
	s_nop 1                                                    // 0000000069C8: BF800001
	v_permlane16_swap_b32_e32 v16, v18                         // 0000000069CC: 7E20B312
	s_nop 1                                                    // 0000000069D0: BF800001
	v_permlane16_swap_b32_e32 v17, v19                         // 0000000069D4: 7E22B313
	s_nop 1                                                    // 0000000069D8: BF800001
	buffer_store_dwordx4 v[16:19], v218, s[4:7], 0 offen       // 0000000069DC: E07C1000 800110DA
	v_add_u32_e32 v218, s62, v218                              // 0000000069E4: 69B5B43E
	v_accvgpr_read_b32 v8, a160                                // 0000000069E8: D3D84008 180001A0
	v_accvgpr_read_b32 v9, a161                                // 0000000069F0: D3D84009 180001A1
	v_accvgpr_read_b32 v10, a162                               // 0000000069F8: D3D8400A 180001A2
	v_accvgpr_read_b32 v11, a163                               // 000000006A00: D3D8400B 180001A3
	v_accvgpr_read_b32 v12, a168                               // 000000006A08: D3D8400C 180001A8
	v_accvgpr_read_b32 v13, a169                               // 000000006A10: D3D8400D 180001A9
	v_accvgpr_read_b32 v14, a170                               // 000000006A18: D3D8400E 180001AA
	v_accvgpr_read_b32 v15, a171                               // 000000006A20: D3D8400F 180001AB
	v_cvt_pk_bf16_f32 v16, v8, v9                              // 000000006A28: D2680010 00021308
	v_cvt_pk_bf16_f32 v17, v10, v11                            // 000000006A30: D2680011 0002170A
	v_cvt_pk_bf16_f32 v18, v12, v13                            // 000000006A38: D2680012 00021B0C
	v_cvt_pk_bf16_f32 v19, v14, v15                            // 000000006A40: D2680013 00021F0E
	s_nop 1                                                    // 000000006A48: BF800001
	v_permlane16_swap_b32_e32 v16, v18                         // 000000006A4C: 7E20B312
	s_nop 1                                                    // 000000006A50: BF800001
	v_permlane16_swap_b32_e32 v17, v19                         // 000000006A54: 7E22B313
	s_nop 1                                                    // 000000006A58: BF800001
	buffer_store_dwordx4 v[16:19], v218, s[4:7], 0 offen       // 000000006A5C: E07C1000 800110DA
	v_add_u32_e32 v218, s62, v218                              // 000000006A64: 69B5B43E
	v_accvgpr_read_b32 v8, a164                                // 000000006A68: D3D84008 180001A4
	v_accvgpr_read_b32 v9, a165                                // 000000006A70: D3D84009 180001A5
	v_accvgpr_read_b32 v10, a166                               // 000000006A78: D3D8400A 180001A6
	v_accvgpr_read_b32 v11, a167                               // 000000006A80: D3D8400B 180001A7
	v_accvgpr_read_b32 v12, a172                               // 000000006A88: D3D8400C 180001AC
	v_accvgpr_read_b32 v13, a173                               // 000000006A90: D3D8400D 180001AD
	v_accvgpr_read_b32 v14, a174                               // 000000006A98: D3D8400E 180001AE
	v_accvgpr_read_b32 v15, a175                               // 000000006AA0: D3D8400F 180001AF
	v_cvt_pk_bf16_f32 v16, v8, v9                              // 000000006AA8: D2680010 00021308
	v_cvt_pk_bf16_f32 v17, v10, v11                            // 000000006AB0: D2680011 0002170A
	v_cvt_pk_bf16_f32 v18, v12, v13                            // 000000006AB8: D2680012 00021B0C
	v_cvt_pk_bf16_f32 v19, v14, v15                            // 000000006AC0: D2680013 00021F0E
	s_nop 1                                                    // 000000006AC8: BF800001
	v_permlane16_swap_b32_e32 v16, v18                         // 000000006ACC: 7E20B312
	s_nop 1                                                    // 000000006AD0: BF800001
	v_permlane16_swap_b32_e32 v17, v19                         // 000000006AD4: 7E22B313
	s_nop 1                                                    // 000000006AD8: BF800001
	buffer_store_dwordx4 v[16:19], v218, s[4:7], 0 offen       // 000000006ADC: E07C1000 800110DA
	v_add_u32_e32 v218, s62, v218                              // 000000006AE4: 69B5B43E
	v_accvgpr_read_b32 v8, a208                                // 000000006AE8: D3D84008 180001D0
	v_accvgpr_read_b32 v9, a209                                // 000000006AF0: D3D84009 180001D1
	v_accvgpr_read_b32 v10, a210                               // 000000006AF8: D3D8400A 180001D2
	v_accvgpr_read_b32 v11, a211                               // 000000006B00: D3D8400B 180001D3
	v_accvgpr_read_b32 v12, a216                               // 000000006B08: D3D8400C 180001D8
	v_accvgpr_read_b32 v13, a217                               // 000000006B10: D3D8400D 180001D9
	v_accvgpr_read_b32 v14, a218                               // 000000006B18: D3D8400E 180001DA
	v_accvgpr_read_b32 v15, a219                               // 000000006B20: D3D8400F 180001DB
	v_cvt_pk_bf16_f32 v16, v8, v9                              // 000000006B28: D2680010 00021308
	v_cvt_pk_bf16_f32 v17, v10, v11                            // 000000006B30: D2680011 0002170A
	v_cvt_pk_bf16_f32 v18, v12, v13                            // 000000006B38: D2680012 00021B0C
	v_cvt_pk_bf16_f32 v19, v14, v15                            // 000000006B40: D2680013 00021F0E
	s_nop 1                                                    // 000000006B48: BF800001
	v_permlane16_swap_b32_e32 v16, v18                         // 000000006B4C: 7E20B312
	s_nop 1                                                    // 000000006B50: BF800001
	v_permlane16_swap_b32_e32 v17, v19                         // 000000006B54: 7E22B313
	s_nop 1                                                    // 000000006B58: BF800001
	buffer_store_dwordx4 v[16:19], v218, s[4:7], 0 offen       // 000000006B5C: E07C1000 800110DA
	v_add_u32_e32 v218, s62, v218                              // 000000006B64: 69B5B43E
	v_accvgpr_read_b32 v8, a212                                // 000000006B68: D3D84008 180001D4
	v_accvgpr_read_b32 v9, a213                                // 000000006B70: D3D84009 180001D5
	v_accvgpr_read_b32 v10, a214                               // 000000006B78: D3D8400A 180001D6
	v_accvgpr_read_b32 v11, a215                               // 000000006B80: D3D8400B 180001D7
	v_accvgpr_read_b32 v12, a220                               // 000000006B88: D3D8400C 180001DC
	v_accvgpr_read_b32 v13, a221                               // 000000006B90: D3D8400D 180001DD
	v_accvgpr_read_b32 v14, a222                               // 000000006B98: D3D8400E 180001DE
	v_accvgpr_read_b32 v15, a223                               // 000000006BA0: D3D8400F 180001DF
	v_cvt_pk_bf16_f32 v16, v8, v9                              // 000000006BA8: D2680010 00021308
	v_cvt_pk_bf16_f32 v17, v10, v11                            // 000000006BB0: D2680011 0002170A
	v_cvt_pk_bf16_f32 v18, v12, v13                            // 000000006BB8: D2680012 00021B0C
	v_cvt_pk_bf16_f32 v19, v14, v15                            // 000000006BC0: D2680013 00021F0E
	s_nop 1                                                    // 000000006BC8: BF800001
	v_permlane16_swap_b32_e32 v16, v18                         // 000000006BCC: 7E20B312
	s_nop 1                                                    // 000000006BD0: BF800001
	v_permlane16_swap_b32_e32 v17, v19                         // 000000006BD4: 7E22B313
	s_nop 1                                                    // 000000006BD8: BF800001
	buffer_store_dwordx4 v[16:19], v218, s[4:7], 0 offen       // 000000006BDC: E07C1000 800110DA
	v_add_u32_e32 v218, s62, v218                              // 000000006BE4: 69B5B43E
	v_add_u32_e32 v218, 0x80, v214                             // 000000006BE8: 69B5ACFF 00000080
	v_accvgpr_read_b32 v8, a32                                 // 000000006BF0: D3D84008 18000120
	v_accvgpr_read_b32 v9, a33                                 // 000000006BF8: D3D84009 18000121
	v_accvgpr_read_b32 v10, a34                                // 000000006C00: D3D8400A 18000122
	v_accvgpr_read_b32 v11, a35                                // 000000006C08: D3D8400B 18000123
	v_accvgpr_read_b32 v12, a40                                // 000000006C10: D3D8400C 18000128
	v_accvgpr_read_b32 v13, a41                                // 000000006C18: D3D8400D 18000129
	v_accvgpr_read_b32 v14, a42                                // 000000006C20: D3D8400E 1800012A
	v_accvgpr_read_b32 v15, a43                                // 000000006C28: D3D8400F 1800012B
	v_cvt_pk_bf16_f32 v16, v8, v9                              // 000000006C30: D2680010 00021308
	v_cvt_pk_bf16_f32 v17, v10, v11                            // 000000006C38: D2680011 0002170A
	v_cvt_pk_bf16_f32 v18, v12, v13                            // 000000006C40: D2680012 00021B0C
	v_cvt_pk_bf16_f32 v19, v14, v15                            // 000000006C48: D2680013 00021F0E
	s_nop 1                                                    // 000000006C50: BF800001
	v_permlane16_swap_b32_e32 v16, v18                         // 000000006C54: 7E20B312
	s_nop 1                                                    // 000000006C58: BF800001
	v_permlane16_swap_b32_e32 v17, v19                         // 000000006C5C: 7E22B313
	s_nop 1                                                    // 000000006C60: BF800001
	buffer_store_dwordx4 v[16:19], v218, s[4:7], 0 offen       // 000000006C64: E07C1000 800110DA
	v_add_u32_e32 v218, s62, v218                              // 000000006C6C: 69B5B43E
	v_accvgpr_read_b32 v8, a36                                 // 000000006C70: D3D84008 18000124
	v_accvgpr_read_b32 v9, a37                                 // 000000006C78: D3D84009 18000125
	v_accvgpr_read_b32 v10, a38                                // 000000006C80: D3D8400A 18000126
	v_accvgpr_read_b32 v11, a39                                // 000000006C88: D3D8400B 18000127
	v_accvgpr_read_b32 v12, a44                                // 000000006C90: D3D8400C 1800012C
	v_accvgpr_read_b32 v13, a45                                // 000000006C98: D3D8400D 1800012D
	v_accvgpr_read_b32 v14, a46                                // 000000006CA0: D3D8400E 1800012E
	v_accvgpr_read_b32 v15, a47                                // 000000006CA8: D3D8400F 1800012F
	v_cvt_pk_bf16_f32 v16, v8, v9                              // 000000006CB0: D2680010 00021308
	v_cvt_pk_bf16_f32 v17, v10, v11                            // 000000006CB8: D2680011 0002170A
	v_cvt_pk_bf16_f32 v18, v12, v13                            // 000000006CC0: D2680012 00021B0C
	v_cvt_pk_bf16_f32 v19, v14, v15                            // 000000006CC8: D2680013 00021F0E
	s_nop 1                                                    // 000000006CD0: BF800001
	v_permlane16_swap_b32_e32 v16, v18                         // 000000006CD4: 7E20B312
	s_nop 1                                                    // 000000006CD8: BF800001
	v_permlane16_swap_b32_e32 v17, v19                         // 000000006CDC: 7E22B313
	s_nop 1                                                    // 000000006CE0: BF800001
	buffer_store_dwordx4 v[16:19], v218, s[4:7], 0 offen       // 000000006CE4: E07C1000 800110DA
	v_add_u32_e32 v218, s62, v218                              // 000000006CEC: 69B5B43E
	v_accvgpr_read_b32 v8, a80                                 // 000000006CF0: D3D84008 18000150
	v_accvgpr_read_b32 v9, a81                                 // 000000006CF8: D3D84009 18000151
	v_accvgpr_read_b32 v10, a82                                // 000000006D00: D3D8400A 18000152
	v_accvgpr_read_b32 v11, a83                                // 000000006D08: D3D8400B 18000153
	v_accvgpr_read_b32 v12, a88                                // 000000006D10: D3D8400C 18000158
	v_accvgpr_read_b32 v13, a89                                // 000000006D18: D3D8400D 18000159
	v_accvgpr_read_b32 v14, a90                                // 000000006D20: D3D8400E 1800015A
	v_accvgpr_read_b32 v15, a91                                // 000000006D28: D3D8400F 1800015B
	v_cvt_pk_bf16_f32 v16, v8, v9                              // 000000006D30: D2680010 00021308
	v_cvt_pk_bf16_f32 v17, v10, v11                            // 000000006D38: D2680011 0002170A
	v_cvt_pk_bf16_f32 v18, v12, v13                            // 000000006D40: D2680012 00021B0C
	v_cvt_pk_bf16_f32 v19, v14, v15                            // 000000006D48: D2680013 00021F0E
	s_nop 1                                                    // 000000006D50: BF800001
	v_permlane16_swap_b32_e32 v16, v18                         // 000000006D54: 7E20B312
	s_nop 1                                                    // 000000006D58: BF800001
	v_permlane16_swap_b32_e32 v17, v19                         // 000000006D5C: 7E22B313
	s_nop 1                                                    // 000000006D60: BF800001
	buffer_store_dwordx4 v[16:19], v218, s[4:7], 0 offen       // 000000006D64: E07C1000 800110DA
	v_add_u32_e32 v218, s62, v218                              // 000000006D6C: 69B5B43E
	v_accvgpr_read_b32 v8, a84                                 // 000000006D70: D3D84008 18000154
	v_accvgpr_read_b32 v9, a85                                 // 000000006D78: D3D84009 18000155
	v_accvgpr_read_b32 v10, a86                                // 000000006D80: D3D8400A 18000156
	v_accvgpr_read_b32 v11, a87                                // 000000006D88: D3D8400B 18000157
	v_accvgpr_read_b32 v12, a92                                // 000000006D90: D3D8400C 1800015C
	v_accvgpr_read_b32 v13, a93                                // 000000006D98: D3D8400D 1800015D
	v_accvgpr_read_b32 v14, a94                                // 000000006DA0: D3D8400E 1800015E
	v_accvgpr_read_b32 v15, a95                                // 000000006DA8: D3D8400F 1800015F
	v_cvt_pk_bf16_f32 v16, v8, v9                              // 000000006DB0: D2680010 00021308
	v_cvt_pk_bf16_f32 v17, v10, v11                            // 000000006DB8: D2680011 0002170A
	v_cvt_pk_bf16_f32 v18, v12, v13                            // 000000006DC0: D2680012 00021B0C
	v_cvt_pk_bf16_f32 v19, v14, v15                            // 000000006DC8: D2680013 00021F0E
	s_nop 1                                                    // 000000006DD0: BF800001
	v_permlane16_swap_b32_e32 v16, v18                         // 000000006DD4: 7E20B312
	s_nop 1                                                    // 000000006DD8: BF800001
	v_permlane16_swap_b32_e32 v17, v19                         // 000000006DDC: 7E22B313
	s_nop 1                                                    // 000000006DE0: BF800001
	buffer_store_dwordx4 v[16:19], v218, s[4:7], 0 offen       // 000000006DE4: E07C1000 800110DA
	v_add_u32_e32 v218, s62, v218                              // 000000006DEC: 69B5B43E
	v_accvgpr_read_b32 v8, a128                                // 000000006DF0: D3D84008 18000180
	v_accvgpr_read_b32 v9, a129                                // 000000006DF8: D3D84009 18000181
	v_accvgpr_read_b32 v10, a130                               // 000000006E00: D3D8400A 18000182
	v_accvgpr_read_b32 v11, a131                               // 000000006E08: D3D8400B 18000183
	v_accvgpr_read_b32 v12, a136                               // 000000006E10: D3D8400C 18000188
	v_accvgpr_read_b32 v13, a137                               // 000000006E18: D3D8400D 18000189
	v_accvgpr_read_b32 v14, a138                               // 000000006E20: D3D8400E 1800018A
	v_accvgpr_read_b32 v15, a139                               // 000000006E28: D3D8400F 1800018B
	v_cvt_pk_bf16_f32 v16, v8, v9                              // 000000006E30: D2680010 00021308
	v_cvt_pk_bf16_f32 v17, v10, v11                            // 000000006E38: D2680011 0002170A
	v_cvt_pk_bf16_f32 v18, v12, v13                            // 000000006E40: D2680012 00021B0C
	v_cvt_pk_bf16_f32 v19, v14, v15                            // 000000006E48: D2680013 00021F0E
	s_nop 1                                                    // 000000006E50: BF800001
	v_permlane16_swap_b32_e32 v16, v18                         // 000000006E54: 7E20B312
	s_nop 1                                                    // 000000006E58: BF800001
	v_permlane16_swap_b32_e32 v17, v19                         // 000000006E5C: 7E22B313
	s_nop 1                                                    // 000000006E60: BF800001
	buffer_store_dwordx4 v[16:19], v218, s[4:7], 0 offen       // 000000006E64: E07C1000 800110DA
	v_add_u32_e32 v218, s62, v218                              // 000000006E6C: 69B5B43E
	v_accvgpr_read_b32 v8, a132                                // 000000006E70: D3D84008 18000184
	v_accvgpr_read_b32 v9, a133                                // 000000006E78: D3D84009 18000185
	v_accvgpr_read_b32 v10, a134                               // 000000006E80: D3D8400A 18000186
	v_accvgpr_read_b32 v11, a135                               // 000000006E88: D3D8400B 18000187
	v_accvgpr_read_b32 v12, a140                               // 000000006E90: D3D8400C 1800018C
	v_accvgpr_read_b32 v13, a141                               // 000000006E98: D3D8400D 1800018D
	v_accvgpr_read_b32 v14, a142                               // 000000006EA0: D3D8400E 1800018E
	v_accvgpr_read_b32 v15, a143                               // 000000006EA8: D3D8400F 1800018F
	v_cvt_pk_bf16_f32 v16, v8, v9                              // 000000006EB0: D2680010 00021308
	v_cvt_pk_bf16_f32 v17, v10, v11                            // 000000006EB8: D2680011 0002170A
	v_cvt_pk_bf16_f32 v18, v12, v13                            // 000000006EC0: D2680012 00021B0C
	v_cvt_pk_bf16_f32 v19, v14, v15                            // 000000006EC8: D2680013 00021F0E
	s_nop 1                                                    // 000000006ED0: BF800001
	v_permlane16_swap_b32_e32 v16, v18                         // 000000006ED4: 7E20B312
	s_nop 1                                                    // 000000006ED8: BF800001
	v_permlane16_swap_b32_e32 v17, v19                         // 000000006EDC: 7E22B313
	s_nop 1                                                    // 000000006EE0: BF800001
	buffer_store_dwordx4 v[16:19], v218, s[4:7], 0 offen       // 000000006EE4: E07C1000 800110DA
	v_add_u32_e32 v218, s62, v218                              // 000000006EEC: 69B5B43E
	v_accvgpr_read_b32 v8, a176                                // 000000006EF0: D3D84008 180001B0
	v_accvgpr_read_b32 v9, a177                                // 000000006EF8: D3D84009 180001B1
	v_accvgpr_read_b32 v10, a178                               // 000000006F00: D3D8400A 180001B2
	v_accvgpr_read_b32 v11, a179                               // 000000006F08: D3D8400B 180001B3
	v_accvgpr_read_b32 v12, a184                               // 000000006F10: D3D8400C 180001B8
	v_accvgpr_read_b32 v13, a185                               // 000000006F18: D3D8400D 180001B9
	v_accvgpr_read_b32 v14, a186                               // 000000006F20: D3D8400E 180001BA
	v_accvgpr_read_b32 v15, a187                               // 000000006F28: D3D8400F 180001BB
	v_cvt_pk_bf16_f32 v16, v8, v9                              // 000000006F30: D2680010 00021308
	v_cvt_pk_bf16_f32 v17, v10, v11                            // 000000006F38: D2680011 0002170A
	v_cvt_pk_bf16_f32 v18, v12, v13                            // 000000006F40: D2680012 00021B0C
	v_cvt_pk_bf16_f32 v19, v14, v15                            // 000000006F48: D2680013 00021F0E
	s_nop 1                                                    // 000000006F50: BF800001
	v_permlane16_swap_b32_e32 v16, v18                         // 000000006F54: 7E20B312
	s_nop 1                                                    // 000000006F58: BF800001
	v_permlane16_swap_b32_e32 v17, v19                         // 000000006F5C: 7E22B313
	s_nop 1                                                    // 000000006F60: BF800001
	buffer_store_dwordx4 v[16:19], v218, s[4:7], 0 offen       // 000000006F64: E07C1000 800110DA
	v_add_u32_e32 v218, s62, v218                              // 000000006F6C: 69B5B43E
	v_accvgpr_read_b32 v8, a180                                // 000000006F70: D3D84008 180001B4
	v_accvgpr_read_b32 v9, a181                                // 000000006F78: D3D84009 180001B5
	v_accvgpr_read_b32 v10, a182                               // 000000006F80: D3D8400A 180001B6
	v_accvgpr_read_b32 v11, a183                               // 000000006F88: D3D8400B 180001B7
	v_accvgpr_read_b32 v12, a188                               // 000000006F90: D3D8400C 180001BC
	v_accvgpr_read_b32 v13, a189                               // 000000006F98: D3D8400D 180001BD
	v_accvgpr_read_b32 v14, a190                               // 000000006FA0: D3D8400E 180001BE
	v_accvgpr_read_b32 v15, a191                               // 000000006FA8: D3D8400F 180001BF
	v_cvt_pk_bf16_f32 v16, v8, v9                              // 000000006FB0: D2680010 00021308
	v_cvt_pk_bf16_f32 v17, v10, v11                            // 000000006FB8: D2680011 0002170A
	v_cvt_pk_bf16_f32 v18, v12, v13                            // 000000006FC0: D2680012 00021B0C
	v_cvt_pk_bf16_f32 v19, v14, v15                            // 000000006FC8: D2680013 00021F0E
	s_nop 1                                                    // 000000006FD0: BF800001
	v_permlane16_swap_b32_e32 v16, v18                         // 000000006FD4: 7E20B312
	s_nop 1                                                    // 000000006FD8: BF800001
	v_permlane16_swap_b32_e32 v17, v19                         // 000000006FDC: 7E22B313
	s_nop 1                                                    // 000000006FE0: BF800001
	buffer_store_dwordx4 v[16:19], v218, s[4:7], 0 offen       // 000000006FE4: E07C1000 800110DA
	v_add_u32_e32 v218, s62, v218                              // 000000006FEC: 69B5B43E
	v_accvgpr_read_b32 v8, a224                                // 000000006FF0: D3D84008 180001E0
	v_accvgpr_read_b32 v9, a225                                // 000000006FF8: D3D84009 180001E1
	v_accvgpr_read_b32 v10, a226                               // 000000007000: D3D8400A 180001E2
	v_accvgpr_read_b32 v11, a227                               // 000000007008: D3D8400B 180001E3
	v_accvgpr_read_b32 v12, a232                               // 000000007010: D3D8400C 180001E8
	v_accvgpr_read_b32 v13, a233                               // 000000007018: D3D8400D 180001E9
	v_accvgpr_read_b32 v14, a234                               // 000000007020: D3D8400E 180001EA
	v_accvgpr_read_b32 v15, a235                               // 000000007028: D3D8400F 180001EB
	v_cvt_pk_bf16_f32 v16, v8, v9                              // 000000007030: D2680010 00021308
	v_cvt_pk_bf16_f32 v17, v10, v11                            // 000000007038: D2680011 0002170A
	v_cvt_pk_bf16_f32 v18, v12, v13                            // 000000007040: D2680012 00021B0C
	v_cvt_pk_bf16_f32 v19, v14, v15                            // 000000007048: D2680013 00021F0E
	s_nop 1                                                    // 000000007050: BF800001
	v_permlane16_swap_b32_e32 v16, v18                         // 000000007054: 7E20B312
	s_nop 1                                                    // 000000007058: BF800001
	v_permlane16_swap_b32_e32 v17, v19                         // 00000000705C: 7E22B313
	s_nop 1                                                    // 000000007060: BF800001
	buffer_store_dwordx4 v[16:19], v218, s[4:7], 0 offen       // 000000007064: E07C1000 800110DA
	v_add_u32_e32 v218, s62, v218                              // 00000000706C: 69B5B43E
	v_accvgpr_read_b32 v8, a228                                // 000000007070: D3D84008 180001E4
	v_accvgpr_read_b32 v9, a229                                // 000000007078: D3D84009 180001E5
	v_accvgpr_read_b32 v10, a230                               // 000000007080: D3D8400A 180001E6
	v_accvgpr_read_b32 v11, a231                               // 000000007088: D3D8400B 180001E7
	v_accvgpr_read_b32 v12, a236                               // 000000007090: D3D8400C 180001EC
	v_accvgpr_read_b32 v13, a237                               // 000000007098: D3D8400D 180001ED
	v_accvgpr_read_b32 v14, a238                               // 0000000070A0: D3D8400E 180001EE
	v_accvgpr_read_b32 v15, a239                               // 0000000070A8: D3D8400F 180001EF
	v_cvt_pk_bf16_f32 v16, v8, v9                              // 0000000070B0: D2680010 00021308
	v_cvt_pk_bf16_f32 v17, v10, v11                            // 0000000070B8: D2680011 0002170A
	v_cvt_pk_bf16_f32 v18, v12, v13                            // 0000000070C0: D2680012 00021B0C
	v_cvt_pk_bf16_f32 v19, v14, v15                            // 0000000070C8: D2680013 00021F0E
	s_nop 1                                                    // 0000000070D0: BF800001
	v_permlane16_swap_b32_e32 v16, v18                         // 0000000070D4: 7E20B312
	s_nop 1                                                    // 0000000070D8: BF800001
	v_permlane16_swap_b32_e32 v17, v19                         // 0000000070DC: 7E22B313
	s_nop 1                                                    // 0000000070E0: BF800001
	buffer_store_dwordx4 v[16:19], v218, s[4:7], 0 offen       // 0000000070E4: E07C1000 800110DA
	v_add_u32_e32 v218, s62, v218                              // 0000000070EC: 69B5B43E
	s_branch label_150B                                        // 0000000070F0: BF8203CE

00000000000070f4 <label_113D>:
	s_mul_i32 s62, s36, 16                                     // 0000000070F4: 923E9024
	s_cmp_lt_i32 s60, s44                                      // 0000000070F8: BF042C3C
	s_cbranch_scc0 label_150B                                  // 0000000070FC: BF8403CB
	s_addk_i32 s60, 0x20                                       // 000000007100: B73C0020
	v_add_u32_e32 v218, 0, v214                                // 000000007104: 69B5AC80
	v_accvgpr_read_b32 v8, a0                                  // 000000007108: D3D84008 18000100
	v_accvgpr_read_b32 v9, a1                                  // 000000007110: D3D84009 18000101
	v_accvgpr_read_b32 v10, a2                                 // 000000007118: D3D8400A 18000102
	v_accvgpr_read_b32 v11, a3                                 // 000000007120: D3D8400B 18000103
	v_accvgpr_read_b32 v12, a8                                 // 000000007128: D3D8400C 18000108
	v_accvgpr_read_b32 v13, a9                                 // 000000007130: D3D8400D 18000109
	v_accvgpr_read_b32 v14, a10                                // 000000007138: D3D8400E 1800010A
	v_accvgpr_read_b32 v15, a11                                // 000000007140: D3D8400F 1800010B
	v_cvt_pk_bf16_f32 v16, v8, v9                              // 000000007148: D2680010 00021308
	v_cvt_pk_bf16_f32 v17, v10, v11                            // 000000007150: D2680011 0002170A
	v_cvt_pk_bf16_f32 v18, v12, v13                            // 000000007158: D2680012 00021B0C
	v_cvt_pk_bf16_f32 v19, v14, v15                            // 000000007160: D2680013 00021F0E
	s_nop 1                                                    // 000000007168: BF800001
	v_permlane16_swap_b32_e32 v16, v18                         // 00000000716C: 7E20B312
	s_nop 1                                                    // 000000007170: BF800001
	v_permlane16_swap_b32_e32 v17, v19                         // 000000007174: 7E22B313
	s_nop 1                                                    // 000000007178: BF800001
	buffer_store_dwordx4 v[16:19], v218, s[4:7], 0 offen       // 00000000717C: E07C1000 800110DA
	v_add_u32_e32 v218, s62, v218                              // 000000007184: 69B5B43E
	v_accvgpr_read_b32 v8, a4                                  // 000000007188: D3D84008 18000104
	v_accvgpr_read_b32 v9, a5                                  // 000000007190: D3D84009 18000105
	v_accvgpr_read_b32 v10, a6                                 // 000000007198: D3D8400A 18000106
	v_accvgpr_read_b32 v11, a7                                 // 0000000071A0: D3D8400B 18000107
	v_accvgpr_read_b32 v12, a12                                // 0000000071A8: D3D8400C 1800010C
	v_accvgpr_read_b32 v13, a13                                // 0000000071B0: D3D8400D 1800010D
	v_accvgpr_read_b32 v14, a14                                // 0000000071B8: D3D8400E 1800010E
	v_accvgpr_read_b32 v15, a15                                // 0000000071C0: D3D8400F 1800010F
	v_cvt_pk_bf16_f32 v16, v8, v9                              // 0000000071C8: D2680010 00021308
	v_cvt_pk_bf16_f32 v17, v10, v11                            // 0000000071D0: D2680011 0002170A
	v_cvt_pk_bf16_f32 v18, v12, v13                            // 0000000071D8: D2680012 00021B0C
	v_cvt_pk_bf16_f32 v19, v14, v15                            // 0000000071E0: D2680013 00021F0E
	s_nop 1                                                    // 0000000071E8: BF800001
	v_permlane16_swap_b32_e32 v16, v18                         // 0000000071EC: 7E20B312
	s_nop 1                                                    // 0000000071F0: BF800001
	v_permlane16_swap_b32_e32 v17, v19                         // 0000000071F4: 7E22B313
	s_nop 1                                                    // 0000000071F8: BF800001
	buffer_store_dwordx4 v[16:19], v218, s[4:7], 0 offen       // 0000000071FC: E07C1000 800110DA
	v_add_u32_e32 v218, s62, v218                              // 000000007204: 69B5B43E
	v_accvgpr_read_b32 v8, a48                                 // 000000007208: D3D84008 18000130
	v_accvgpr_read_b32 v9, a49                                 // 000000007210: D3D84009 18000131
	v_accvgpr_read_b32 v10, a50                                // 000000007218: D3D8400A 18000132
	v_accvgpr_read_b32 v11, a51                                // 000000007220: D3D8400B 18000133
	v_accvgpr_read_b32 v12, a56                                // 000000007228: D3D8400C 18000138
	v_accvgpr_read_b32 v13, a57                                // 000000007230: D3D8400D 18000139
	v_accvgpr_read_b32 v14, a58                                // 000000007238: D3D8400E 1800013A
	v_accvgpr_read_b32 v15, a59                                // 000000007240: D3D8400F 1800013B
	v_cvt_pk_bf16_f32 v16, v8, v9                              // 000000007248: D2680010 00021308
	v_cvt_pk_bf16_f32 v17, v10, v11                            // 000000007250: D2680011 0002170A
	v_cvt_pk_bf16_f32 v18, v12, v13                            // 000000007258: D2680012 00021B0C
	v_cvt_pk_bf16_f32 v19, v14, v15                            // 000000007260: D2680013 00021F0E
	s_nop 1                                                    // 000000007268: BF800001
	v_permlane16_swap_b32_e32 v16, v18                         // 00000000726C: 7E20B312
	s_nop 1                                                    // 000000007270: BF800001
	v_permlane16_swap_b32_e32 v17, v19                         // 000000007274: 7E22B313
	s_nop 1                                                    // 000000007278: BF800001
	buffer_store_dwordx4 v[16:19], v218, s[4:7], 0 offen       // 00000000727C: E07C1000 800110DA
	v_add_u32_e32 v218, s62, v218                              // 000000007284: 69B5B43E
	v_accvgpr_read_b32 v8, a52                                 // 000000007288: D3D84008 18000134
	v_accvgpr_read_b32 v9, a53                                 // 000000007290: D3D84009 18000135
	v_accvgpr_read_b32 v10, a54                                // 000000007298: D3D8400A 18000136
	v_accvgpr_read_b32 v11, a55                                // 0000000072A0: D3D8400B 18000137
	v_accvgpr_read_b32 v12, a60                                // 0000000072A8: D3D8400C 1800013C
	v_accvgpr_read_b32 v13, a61                                // 0000000072B0: D3D8400D 1800013D
	v_accvgpr_read_b32 v14, a62                                // 0000000072B8: D3D8400E 1800013E
	v_accvgpr_read_b32 v15, a63                                // 0000000072C0: D3D8400F 1800013F
	v_cvt_pk_bf16_f32 v16, v8, v9                              // 0000000072C8: D2680010 00021308
	v_cvt_pk_bf16_f32 v17, v10, v11                            // 0000000072D0: D2680011 0002170A
	v_cvt_pk_bf16_f32 v18, v12, v13                            // 0000000072D8: D2680012 00021B0C
	v_cvt_pk_bf16_f32 v19, v14, v15                            // 0000000072E0: D2680013 00021F0E
	s_nop 1                                                    // 0000000072E8: BF800001
	v_permlane16_swap_b32_e32 v16, v18                         // 0000000072EC: 7E20B312
	s_nop 1                                                    // 0000000072F0: BF800001
	v_permlane16_swap_b32_e32 v17, v19                         // 0000000072F4: 7E22B313
	s_nop 1                                                    // 0000000072F8: BF800001
	buffer_store_dwordx4 v[16:19], v218, s[4:7], 0 offen       // 0000000072FC: E07C1000 800110DA
	v_add_u32_e32 v218, s62, v218                              // 000000007304: 69B5B43E
	v_accvgpr_read_b32 v8, a96                                 // 000000007308: D3D84008 18000160
	v_accvgpr_read_b32 v9, a97                                 // 000000007310: D3D84009 18000161
	v_accvgpr_read_b32 v10, a98                                // 000000007318: D3D8400A 18000162
	v_accvgpr_read_b32 v11, a99                                // 000000007320: D3D8400B 18000163
	v_accvgpr_read_b32 v12, a104                               // 000000007328: D3D8400C 18000168
	v_accvgpr_read_b32 v13, a105                               // 000000007330: D3D8400D 18000169
	v_accvgpr_read_b32 v14, a106                               // 000000007338: D3D8400E 1800016A
	v_accvgpr_read_b32 v15, a107                               // 000000007340: D3D8400F 1800016B
	v_cvt_pk_bf16_f32 v16, v8, v9                              // 000000007348: D2680010 00021308
	v_cvt_pk_bf16_f32 v17, v10, v11                            // 000000007350: D2680011 0002170A
	v_cvt_pk_bf16_f32 v18, v12, v13                            // 000000007358: D2680012 00021B0C
	v_cvt_pk_bf16_f32 v19, v14, v15                            // 000000007360: D2680013 00021F0E
	s_nop 1                                                    // 000000007368: BF800001
	v_permlane16_swap_b32_e32 v16, v18                         // 00000000736C: 7E20B312
	s_nop 1                                                    // 000000007370: BF800001
	v_permlane16_swap_b32_e32 v17, v19                         // 000000007374: 7E22B313
	s_nop 1                                                    // 000000007378: BF800001
	buffer_store_dwordx4 v[16:19], v218, s[4:7], 0 offen       // 00000000737C: E07C1000 800110DA
	v_add_u32_e32 v218, s62, v218                              // 000000007384: 69B5B43E
	v_accvgpr_read_b32 v8, a100                                // 000000007388: D3D84008 18000164
	v_accvgpr_read_b32 v9, a101                                // 000000007390: D3D84009 18000165
	v_accvgpr_read_b32 v10, a102                               // 000000007398: D3D8400A 18000166
	v_accvgpr_read_b32 v11, a103                               // 0000000073A0: D3D8400B 18000167
	v_accvgpr_read_b32 v12, a108                               // 0000000073A8: D3D8400C 1800016C
	v_accvgpr_read_b32 v13, a109                               // 0000000073B0: D3D8400D 1800016D
	v_accvgpr_read_b32 v14, a110                               // 0000000073B8: D3D8400E 1800016E
	v_accvgpr_read_b32 v15, a111                               // 0000000073C0: D3D8400F 1800016F
	v_cvt_pk_bf16_f32 v16, v8, v9                              // 0000000073C8: D2680010 00021308
	v_cvt_pk_bf16_f32 v17, v10, v11                            // 0000000073D0: D2680011 0002170A
	v_cvt_pk_bf16_f32 v18, v12, v13                            // 0000000073D8: D2680012 00021B0C
	v_cvt_pk_bf16_f32 v19, v14, v15                            // 0000000073E0: D2680013 00021F0E
	s_nop 1                                                    // 0000000073E8: BF800001
	v_permlane16_swap_b32_e32 v16, v18                         // 0000000073EC: 7E20B312
	s_nop 1                                                    // 0000000073F0: BF800001
	v_permlane16_swap_b32_e32 v17, v19                         // 0000000073F4: 7E22B313
	s_nop 1                                                    // 0000000073F8: BF800001
	buffer_store_dwordx4 v[16:19], v218, s[4:7], 0 offen       // 0000000073FC: E07C1000 800110DA
	v_add_u32_e32 v218, s62, v218                              // 000000007404: 69B5B43E
	v_accvgpr_read_b32 v8, a144                                // 000000007408: D3D84008 18000190
	v_accvgpr_read_b32 v9, a145                                // 000000007410: D3D84009 18000191
	v_accvgpr_read_b32 v10, a146                               // 000000007418: D3D8400A 18000192
	v_accvgpr_read_b32 v11, a147                               // 000000007420: D3D8400B 18000193
	v_accvgpr_read_b32 v12, a152                               // 000000007428: D3D8400C 18000198
	v_accvgpr_read_b32 v13, a153                               // 000000007430: D3D8400D 18000199
	v_accvgpr_read_b32 v14, a154                               // 000000007438: D3D8400E 1800019A
	v_accvgpr_read_b32 v15, a155                               // 000000007440: D3D8400F 1800019B
	v_cvt_pk_bf16_f32 v16, v8, v9                              // 000000007448: D2680010 00021308
	v_cvt_pk_bf16_f32 v17, v10, v11                            // 000000007450: D2680011 0002170A
	v_cvt_pk_bf16_f32 v18, v12, v13                            // 000000007458: D2680012 00021B0C
	v_cvt_pk_bf16_f32 v19, v14, v15                            // 000000007460: D2680013 00021F0E
	s_nop 1                                                    // 000000007468: BF800001
	v_permlane16_swap_b32_e32 v16, v18                         // 00000000746C: 7E20B312
	s_nop 1                                                    // 000000007470: BF800001
	v_permlane16_swap_b32_e32 v17, v19                         // 000000007474: 7E22B313
	s_nop 1                                                    // 000000007478: BF800001
	buffer_store_dwordx4 v[16:19], v218, s[4:7], 0 offen       // 00000000747C: E07C1000 800110DA
	v_add_u32_e32 v218, s62, v218                              // 000000007484: 69B5B43E
	v_accvgpr_read_b32 v8, a148                                // 000000007488: D3D84008 18000194
	v_accvgpr_read_b32 v9, a149                                // 000000007490: D3D84009 18000195
	v_accvgpr_read_b32 v10, a150                               // 000000007498: D3D8400A 18000196
	v_accvgpr_read_b32 v11, a151                               // 0000000074A0: D3D8400B 18000197
	v_accvgpr_read_b32 v12, a156                               // 0000000074A8: D3D8400C 1800019C
	v_accvgpr_read_b32 v13, a157                               // 0000000074B0: D3D8400D 1800019D
	v_accvgpr_read_b32 v14, a158                               // 0000000074B8: D3D8400E 1800019E
	v_accvgpr_read_b32 v15, a159                               // 0000000074C0: D3D8400F 1800019F
	v_cvt_pk_bf16_f32 v16, v8, v9                              // 0000000074C8: D2680010 00021308
	v_cvt_pk_bf16_f32 v17, v10, v11                            // 0000000074D0: D2680011 0002170A
	v_cvt_pk_bf16_f32 v18, v12, v13                            // 0000000074D8: D2680012 00021B0C
	v_cvt_pk_bf16_f32 v19, v14, v15                            // 0000000074E0: D2680013 00021F0E
	s_nop 1                                                    // 0000000074E8: BF800001
	v_permlane16_swap_b32_e32 v16, v18                         // 0000000074EC: 7E20B312
	s_nop 1                                                    // 0000000074F0: BF800001
	v_permlane16_swap_b32_e32 v17, v19                         // 0000000074F4: 7E22B313
	s_nop 1                                                    // 0000000074F8: BF800001
	buffer_store_dwordx4 v[16:19], v218, s[4:7], 0 offen       // 0000000074FC: E07C1000 800110DA
	v_add_u32_e32 v218, s62, v218                              // 000000007504: 69B5B43E
	v_accvgpr_read_b32 v8, a192                                // 000000007508: D3D84008 180001C0
	v_accvgpr_read_b32 v9, a193                                // 000000007510: D3D84009 180001C1
	v_accvgpr_read_b32 v10, a194                               // 000000007518: D3D8400A 180001C2
	v_accvgpr_read_b32 v11, a195                               // 000000007520: D3D8400B 180001C3
	v_accvgpr_read_b32 v12, a200                               // 000000007528: D3D8400C 180001C8
	v_accvgpr_read_b32 v13, a201                               // 000000007530: D3D8400D 180001C9
	v_accvgpr_read_b32 v14, a202                               // 000000007538: D3D8400E 180001CA
	v_accvgpr_read_b32 v15, a203                               // 000000007540: D3D8400F 180001CB
	v_cvt_pk_bf16_f32 v16, v8, v9                              // 000000007548: D2680010 00021308
	v_cvt_pk_bf16_f32 v17, v10, v11                            // 000000007550: D2680011 0002170A
	v_cvt_pk_bf16_f32 v18, v12, v13                            // 000000007558: D2680012 00021B0C
	v_cvt_pk_bf16_f32 v19, v14, v15                            // 000000007560: D2680013 00021F0E
	s_nop 1                                                    // 000000007568: BF800001
	v_permlane16_swap_b32_e32 v16, v18                         // 00000000756C: 7E20B312
	s_nop 1                                                    // 000000007570: BF800001
	v_permlane16_swap_b32_e32 v17, v19                         // 000000007574: 7E22B313
	s_nop 1                                                    // 000000007578: BF800001
	buffer_store_dwordx4 v[16:19], v218, s[4:7], 0 offen       // 00000000757C: E07C1000 800110DA
	v_add_u32_e32 v218, s62, v218                              // 000000007584: 69B5B43E
	v_accvgpr_read_b32 v8, a196                                // 000000007588: D3D84008 180001C4
	v_accvgpr_read_b32 v9, a197                                // 000000007590: D3D84009 180001C5
	v_accvgpr_read_b32 v10, a198                               // 000000007598: D3D8400A 180001C6
	v_accvgpr_read_b32 v11, a199                               // 0000000075A0: D3D8400B 180001C7
	v_accvgpr_read_b32 v12, a204                               // 0000000075A8: D3D8400C 180001CC
	v_accvgpr_read_b32 v13, a205                               // 0000000075B0: D3D8400D 180001CD
	v_accvgpr_read_b32 v14, a206                               // 0000000075B8: D3D8400E 180001CE
	v_accvgpr_read_b32 v15, a207                               // 0000000075C0: D3D8400F 180001CF
	v_cvt_pk_bf16_f32 v16, v8, v9                              // 0000000075C8: D2680010 00021308
	v_cvt_pk_bf16_f32 v17, v10, v11                            // 0000000075D0: D2680011 0002170A
	v_cvt_pk_bf16_f32 v18, v12, v13                            // 0000000075D8: D2680012 00021B0C
	v_cvt_pk_bf16_f32 v19, v14, v15                            // 0000000075E0: D2680013 00021F0E
	s_nop 1                                                    // 0000000075E8: BF800001
	v_permlane16_swap_b32_e32 v16, v18                         // 0000000075EC: 7E20B312
	s_nop 1                                                    // 0000000075F0: BF800001
	v_permlane16_swap_b32_e32 v17, v19                         // 0000000075F4: 7E22B313
	s_nop 1                                                    // 0000000075F8: BF800001
	buffer_store_dwordx4 v[16:19], v218, s[4:7], 0 offen       // 0000000075FC: E07C1000 800110DA
	v_add_u32_e32 v218, s62, v218                              // 000000007604: 69B5B43E
	s_cmp_lt_i32 s60, s44                                      // 000000007608: BF042C3C
	s_cbranch_scc0 label_150B                                  // 00000000760C: BF840287
	s_addk_i32 s60, 0x20                                       // 000000007610: B73C0020
	v_add_u32_e32 v218, 64, v214                               // 000000007614: 69B5ACC0
	v_accvgpr_read_b32 v8, a16                                 // 000000007618: D3D84008 18000110
	v_accvgpr_read_b32 v9, a17                                 // 000000007620: D3D84009 18000111
	v_accvgpr_read_b32 v10, a18                                // 000000007628: D3D8400A 18000112
	v_accvgpr_read_b32 v11, a19                                // 000000007630: D3D8400B 18000113
	v_accvgpr_read_b32 v12, a24                                // 000000007638: D3D8400C 18000118
	v_accvgpr_read_b32 v13, a25                                // 000000007640: D3D8400D 18000119
	v_accvgpr_read_b32 v14, a26                                // 000000007648: D3D8400E 1800011A
	v_accvgpr_read_b32 v15, a27                                // 000000007650: D3D8400F 1800011B
	v_cvt_pk_bf16_f32 v16, v8, v9                              // 000000007658: D2680010 00021308
	v_cvt_pk_bf16_f32 v17, v10, v11                            // 000000007660: D2680011 0002170A
	v_cvt_pk_bf16_f32 v18, v12, v13                            // 000000007668: D2680012 00021B0C
	v_cvt_pk_bf16_f32 v19, v14, v15                            // 000000007670: D2680013 00021F0E
	s_nop 1                                                    // 000000007678: BF800001
	v_permlane16_swap_b32_e32 v16, v18                         // 00000000767C: 7E20B312
	s_nop 1                                                    // 000000007680: BF800001
	v_permlane16_swap_b32_e32 v17, v19                         // 000000007684: 7E22B313
	s_nop 1                                                    // 000000007688: BF800001
	buffer_store_dwordx4 v[16:19], v218, s[4:7], 0 offen       // 00000000768C: E07C1000 800110DA
	v_add_u32_e32 v218, s62, v218                              // 000000007694: 69B5B43E
	v_accvgpr_read_b32 v8, a20                                 // 000000007698: D3D84008 18000114
	v_accvgpr_read_b32 v9, a21                                 // 0000000076A0: D3D84009 18000115
	v_accvgpr_read_b32 v10, a22                                // 0000000076A8: D3D8400A 18000116
	v_accvgpr_read_b32 v11, a23                                // 0000000076B0: D3D8400B 18000117
	v_accvgpr_read_b32 v12, a28                                // 0000000076B8: D3D8400C 1800011C
	v_accvgpr_read_b32 v13, a29                                // 0000000076C0: D3D8400D 1800011D
	v_accvgpr_read_b32 v14, a30                                // 0000000076C8: D3D8400E 1800011E
	v_accvgpr_read_b32 v15, a31                                // 0000000076D0: D3D8400F 1800011F
	v_cvt_pk_bf16_f32 v16, v8, v9                              // 0000000076D8: D2680010 00021308
	v_cvt_pk_bf16_f32 v17, v10, v11                            // 0000000076E0: D2680011 0002170A
	v_cvt_pk_bf16_f32 v18, v12, v13                            // 0000000076E8: D2680012 00021B0C
	v_cvt_pk_bf16_f32 v19, v14, v15                            // 0000000076F0: D2680013 00021F0E
	s_nop 1                                                    // 0000000076F8: BF800001
	v_permlane16_swap_b32_e32 v16, v18                         // 0000000076FC: 7E20B312
	s_nop 1                                                    // 000000007700: BF800001
	v_permlane16_swap_b32_e32 v17, v19                         // 000000007704: 7E22B313
	s_nop 1                                                    // 000000007708: BF800001
	buffer_store_dwordx4 v[16:19], v218, s[4:7], 0 offen       // 00000000770C: E07C1000 800110DA
	v_add_u32_e32 v218, s62, v218                              // 000000007714: 69B5B43E
	v_accvgpr_read_b32 v8, a64                                 // 000000007718: D3D84008 18000140
	v_accvgpr_read_b32 v9, a65                                 // 000000007720: D3D84009 18000141
	v_accvgpr_read_b32 v10, a66                                // 000000007728: D3D8400A 18000142
	v_accvgpr_read_b32 v11, a67                                // 000000007730: D3D8400B 18000143
	v_accvgpr_read_b32 v12, a72                                // 000000007738: D3D8400C 18000148
	v_accvgpr_read_b32 v13, a73                                // 000000007740: D3D8400D 18000149
	v_accvgpr_read_b32 v14, a74                                // 000000007748: D3D8400E 1800014A
	v_accvgpr_read_b32 v15, a75                                // 000000007750: D3D8400F 1800014B
	v_cvt_pk_bf16_f32 v16, v8, v9                              // 000000007758: D2680010 00021308
	v_cvt_pk_bf16_f32 v17, v10, v11                            // 000000007760: D2680011 0002170A
	v_cvt_pk_bf16_f32 v18, v12, v13                            // 000000007768: D2680012 00021B0C
	v_cvt_pk_bf16_f32 v19, v14, v15                            // 000000007770: D2680013 00021F0E
	s_nop 1                                                    // 000000007778: BF800001
	v_permlane16_swap_b32_e32 v16, v18                         // 00000000777C: 7E20B312
	s_nop 1                                                    // 000000007780: BF800001
	v_permlane16_swap_b32_e32 v17, v19                         // 000000007784: 7E22B313
	s_nop 1                                                    // 000000007788: BF800001
	buffer_store_dwordx4 v[16:19], v218, s[4:7], 0 offen       // 00000000778C: E07C1000 800110DA
	v_add_u32_e32 v218, s62, v218                              // 000000007794: 69B5B43E
	v_accvgpr_read_b32 v8, a68                                 // 000000007798: D3D84008 18000144
	v_accvgpr_read_b32 v9, a69                                 // 0000000077A0: D3D84009 18000145
	v_accvgpr_read_b32 v10, a70                                // 0000000077A8: D3D8400A 18000146
	v_accvgpr_read_b32 v11, a71                                // 0000000077B0: D3D8400B 18000147
	v_accvgpr_read_b32 v12, a76                                // 0000000077B8: D3D8400C 1800014C
	v_accvgpr_read_b32 v13, a77                                // 0000000077C0: D3D8400D 1800014D
	v_accvgpr_read_b32 v14, a78                                // 0000000077C8: D3D8400E 1800014E
	v_accvgpr_read_b32 v15, a79                                // 0000000077D0: D3D8400F 1800014F
	v_cvt_pk_bf16_f32 v16, v8, v9                              // 0000000077D8: D2680010 00021308
	v_cvt_pk_bf16_f32 v17, v10, v11                            // 0000000077E0: D2680011 0002170A
	v_cvt_pk_bf16_f32 v18, v12, v13                            // 0000000077E8: D2680012 00021B0C
	v_cvt_pk_bf16_f32 v19, v14, v15                            // 0000000077F0: D2680013 00021F0E
	s_nop 1                                                    // 0000000077F8: BF800001
	v_permlane16_swap_b32_e32 v16, v18                         // 0000000077FC: 7E20B312
	s_nop 1                                                    // 000000007800: BF800001
	v_permlane16_swap_b32_e32 v17, v19                         // 000000007804: 7E22B313
	s_nop 1                                                    // 000000007808: BF800001
	buffer_store_dwordx4 v[16:19], v218, s[4:7], 0 offen       // 00000000780C: E07C1000 800110DA
	v_add_u32_e32 v218, s62, v218                              // 000000007814: 69B5B43E
	v_accvgpr_read_b32 v8, a112                                // 000000007818: D3D84008 18000170
	v_accvgpr_read_b32 v9, a113                                // 000000007820: D3D84009 18000171
	v_accvgpr_read_b32 v10, a114                               // 000000007828: D3D8400A 18000172
	v_accvgpr_read_b32 v11, a115                               // 000000007830: D3D8400B 18000173
	v_accvgpr_read_b32 v12, a120                               // 000000007838: D3D8400C 18000178
	v_accvgpr_read_b32 v13, a121                               // 000000007840: D3D8400D 18000179
	v_accvgpr_read_b32 v14, a122                               // 000000007848: D3D8400E 1800017A
	v_accvgpr_read_b32 v15, a123                               // 000000007850: D3D8400F 1800017B
	v_cvt_pk_bf16_f32 v16, v8, v9                              // 000000007858: D2680010 00021308
	v_cvt_pk_bf16_f32 v17, v10, v11                            // 000000007860: D2680011 0002170A
	v_cvt_pk_bf16_f32 v18, v12, v13                            // 000000007868: D2680012 00021B0C
	v_cvt_pk_bf16_f32 v19, v14, v15                            // 000000007870: D2680013 00021F0E
	s_nop 1                                                    // 000000007878: BF800001
	v_permlane16_swap_b32_e32 v16, v18                         // 00000000787C: 7E20B312
	s_nop 1                                                    // 000000007880: BF800001
	v_permlane16_swap_b32_e32 v17, v19                         // 000000007884: 7E22B313
	s_nop 1                                                    // 000000007888: BF800001
	buffer_store_dwordx4 v[16:19], v218, s[4:7], 0 offen       // 00000000788C: E07C1000 800110DA
	v_add_u32_e32 v218, s62, v218                              // 000000007894: 69B5B43E
	v_accvgpr_read_b32 v8, a116                                // 000000007898: D3D84008 18000174
	v_accvgpr_read_b32 v9, a117                                // 0000000078A0: D3D84009 18000175
	v_accvgpr_read_b32 v10, a118                               // 0000000078A8: D3D8400A 18000176
	v_accvgpr_read_b32 v11, a119                               // 0000000078B0: D3D8400B 18000177
	v_accvgpr_read_b32 v12, a124                               // 0000000078B8: D3D8400C 1800017C
	v_accvgpr_read_b32 v13, a125                               // 0000000078C0: D3D8400D 1800017D
	v_accvgpr_read_b32 v14, a126                               // 0000000078C8: D3D8400E 1800017E
	v_accvgpr_read_b32 v15, a127                               // 0000000078D0: D3D8400F 1800017F
	v_cvt_pk_bf16_f32 v16, v8, v9                              // 0000000078D8: D2680010 00021308
	v_cvt_pk_bf16_f32 v17, v10, v11                            // 0000000078E0: D2680011 0002170A
	v_cvt_pk_bf16_f32 v18, v12, v13                            // 0000000078E8: D2680012 00021B0C
	v_cvt_pk_bf16_f32 v19, v14, v15                            // 0000000078F0: D2680013 00021F0E
	s_nop 1                                                    // 0000000078F8: BF800001
	v_permlane16_swap_b32_e32 v16, v18                         // 0000000078FC: 7E20B312
	s_nop 1                                                    // 000000007900: BF800001
	v_permlane16_swap_b32_e32 v17, v19                         // 000000007904: 7E22B313
	s_nop 1                                                    // 000000007908: BF800001
	buffer_store_dwordx4 v[16:19], v218, s[4:7], 0 offen       // 00000000790C: E07C1000 800110DA
	v_add_u32_e32 v218, s62, v218                              // 000000007914: 69B5B43E
	v_accvgpr_read_b32 v8, a160                                // 000000007918: D3D84008 180001A0
	v_accvgpr_read_b32 v9, a161                                // 000000007920: D3D84009 180001A1
	v_accvgpr_read_b32 v10, a162                               // 000000007928: D3D8400A 180001A2
	v_accvgpr_read_b32 v11, a163                               // 000000007930: D3D8400B 180001A3
	v_accvgpr_read_b32 v12, a168                               // 000000007938: D3D8400C 180001A8
	v_accvgpr_read_b32 v13, a169                               // 000000007940: D3D8400D 180001A9
	v_accvgpr_read_b32 v14, a170                               // 000000007948: D3D8400E 180001AA
	v_accvgpr_read_b32 v15, a171                               // 000000007950: D3D8400F 180001AB
	v_cvt_pk_bf16_f32 v16, v8, v9                              // 000000007958: D2680010 00021308
	v_cvt_pk_bf16_f32 v17, v10, v11                            // 000000007960: D2680011 0002170A
	v_cvt_pk_bf16_f32 v18, v12, v13                            // 000000007968: D2680012 00021B0C
	v_cvt_pk_bf16_f32 v19, v14, v15                            // 000000007970: D2680013 00021F0E
	s_nop 1                                                    // 000000007978: BF800001
	v_permlane16_swap_b32_e32 v16, v18                         // 00000000797C: 7E20B312
	s_nop 1                                                    // 000000007980: BF800001
	v_permlane16_swap_b32_e32 v17, v19                         // 000000007984: 7E22B313
	s_nop 1                                                    // 000000007988: BF800001
	buffer_store_dwordx4 v[16:19], v218, s[4:7], 0 offen       // 00000000798C: E07C1000 800110DA
	v_add_u32_e32 v218, s62, v218                              // 000000007994: 69B5B43E
	v_accvgpr_read_b32 v8, a164                                // 000000007998: D3D84008 180001A4
	v_accvgpr_read_b32 v9, a165                                // 0000000079A0: D3D84009 180001A5
	v_accvgpr_read_b32 v10, a166                               // 0000000079A8: D3D8400A 180001A6
	v_accvgpr_read_b32 v11, a167                               // 0000000079B0: D3D8400B 180001A7
	v_accvgpr_read_b32 v12, a172                               // 0000000079B8: D3D8400C 180001AC
	v_accvgpr_read_b32 v13, a173                               // 0000000079C0: D3D8400D 180001AD
	v_accvgpr_read_b32 v14, a174                               // 0000000079C8: D3D8400E 180001AE
	v_accvgpr_read_b32 v15, a175                               // 0000000079D0: D3D8400F 180001AF
	v_cvt_pk_bf16_f32 v16, v8, v9                              // 0000000079D8: D2680010 00021308
	v_cvt_pk_bf16_f32 v17, v10, v11                            // 0000000079E0: D2680011 0002170A
	v_cvt_pk_bf16_f32 v18, v12, v13                            // 0000000079E8: D2680012 00021B0C
	v_cvt_pk_bf16_f32 v19, v14, v15                            // 0000000079F0: D2680013 00021F0E
	s_nop 1                                                    // 0000000079F8: BF800001
	v_permlane16_swap_b32_e32 v16, v18                         // 0000000079FC: 7E20B312
	s_nop 1                                                    // 000000007A00: BF800001
	v_permlane16_swap_b32_e32 v17, v19                         // 000000007A04: 7E22B313
	s_nop 1                                                    // 000000007A08: BF800001
	buffer_store_dwordx4 v[16:19], v218, s[4:7], 0 offen       // 000000007A0C: E07C1000 800110DA
	v_add_u32_e32 v218, s62, v218                              // 000000007A14: 69B5B43E
	v_accvgpr_read_b32 v8, a208                                // 000000007A18: D3D84008 180001D0
	v_accvgpr_read_b32 v9, a209                                // 000000007A20: D3D84009 180001D1
	v_accvgpr_read_b32 v10, a210                               // 000000007A28: D3D8400A 180001D2
	v_accvgpr_read_b32 v11, a211                               // 000000007A30: D3D8400B 180001D3
	v_accvgpr_read_b32 v12, a216                               // 000000007A38: D3D8400C 180001D8
	v_accvgpr_read_b32 v13, a217                               // 000000007A40: D3D8400D 180001D9
	v_accvgpr_read_b32 v14, a218                               // 000000007A48: D3D8400E 180001DA
	v_accvgpr_read_b32 v15, a219                               // 000000007A50: D3D8400F 180001DB
	v_cvt_pk_bf16_f32 v16, v8, v9                              // 000000007A58: D2680010 00021308
	v_cvt_pk_bf16_f32 v17, v10, v11                            // 000000007A60: D2680011 0002170A
	v_cvt_pk_bf16_f32 v18, v12, v13                            // 000000007A68: D2680012 00021B0C
	v_cvt_pk_bf16_f32 v19, v14, v15                            // 000000007A70: D2680013 00021F0E
	s_nop 1                                                    // 000000007A78: BF800001
	v_permlane16_swap_b32_e32 v16, v18                         // 000000007A7C: 7E20B312
	s_nop 1                                                    // 000000007A80: BF800001
	v_permlane16_swap_b32_e32 v17, v19                         // 000000007A84: 7E22B313
	s_nop 1                                                    // 000000007A88: BF800001
	buffer_store_dwordx4 v[16:19], v218, s[4:7], 0 offen       // 000000007A8C: E07C1000 800110DA
	v_add_u32_e32 v218, s62, v218                              // 000000007A94: 69B5B43E
	v_accvgpr_read_b32 v8, a212                                // 000000007A98: D3D84008 180001D4
	v_accvgpr_read_b32 v9, a213                                // 000000007AA0: D3D84009 180001D5
	v_accvgpr_read_b32 v10, a214                               // 000000007AA8: D3D8400A 180001D6
	v_accvgpr_read_b32 v11, a215                               // 000000007AB0: D3D8400B 180001D7
	v_accvgpr_read_b32 v12, a220                               // 000000007AB8: D3D8400C 180001DC
	v_accvgpr_read_b32 v13, a221                               // 000000007AC0: D3D8400D 180001DD
	v_accvgpr_read_b32 v14, a222                               // 000000007AC8: D3D8400E 180001DE
	v_accvgpr_read_b32 v15, a223                               // 000000007AD0: D3D8400F 180001DF
	v_cvt_pk_bf16_f32 v16, v8, v9                              // 000000007AD8: D2680010 00021308
	v_cvt_pk_bf16_f32 v17, v10, v11                            // 000000007AE0: D2680011 0002170A
	v_cvt_pk_bf16_f32 v18, v12, v13                            // 000000007AE8: D2680012 00021B0C
	v_cvt_pk_bf16_f32 v19, v14, v15                            // 000000007AF0: D2680013 00021F0E
	s_nop 1                                                    // 000000007AF8: BF800001
	v_permlane16_swap_b32_e32 v16, v18                         // 000000007AFC: 7E20B312
	s_nop 1                                                    // 000000007B00: BF800001
	v_permlane16_swap_b32_e32 v17, v19                         // 000000007B04: 7E22B313
	s_nop 1                                                    // 000000007B08: BF800001
	buffer_store_dwordx4 v[16:19], v218, s[4:7], 0 offen       // 000000007B0C: E07C1000 800110DA
	v_add_u32_e32 v218, s62, v218                              // 000000007B14: 69B5B43E
	s_cmp_lt_i32 s60, s44                                      // 000000007B18: BF042C3C
	s_cbranch_scc0 label_150B                                  // 000000007B1C: BF840143
	s_addk_i32 s60, 0x20                                       // 000000007B20: B73C0020
	v_add_u32_e32 v218, 0x80, v214                             // 000000007B24: 69B5ACFF 00000080
	v_accvgpr_read_b32 v8, a32                                 // 000000007B2C: D3D84008 18000120
	v_accvgpr_read_b32 v9, a33                                 // 000000007B34: D3D84009 18000121
	v_accvgpr_read_b32 v10, a34                                // 000000007B3C: D3D8400A 18000122
	v_accvgpr_read_b32 v11, a35                                // 000000007B44: D3D8400B 18000123
	v_accvgpr_read_b32 v12, a40                                // 000000007B4C: D3D8400C 18000128
	v_accvgpr_read_b32 v13, a41                                // 000000007B54: D3D8400D 18000129
	v_accvgpr_read_b32 v14, a42                                // 000000007B5C: D3D8400E 1800012A
	v_accvgpr_read_b32 v15, a43                                // 000000007B64: D3D8400F 1800012B
	v_cvt_pk_bf16_f32 v16, v8, v9                              // 000000007B6C: D2680010 00021308
	v_cvt_pk_bf16_f32 v17, v10, v11                            // 000000007B74: D2680011 0002170A
	v_cvt_pk_bf16_f32 v18, v12, v13                            // 000000007B7C: D2680012 00021B0C
	v_cvt_pk_bf16_f32 v19, v14, v15                            // 000000007B84: D2680013 00021F0E
	s_nop 1                                                    // 000000007B8C: BF800001
	v_permlane16_swap_b32_e32 v16, v18                         // 000000007B90: 7E20B312
	s_nop 1                                                    // 000000007B94: BF800001
	v_permlane16_swap_b32_e32 v17, v19                         // 000000007B98: 7E22B313
	s_nop 1                                                    // 000000007B9C: BF800001
	buffer_store_dwordx4 v[16:19], v218, s[4:7], 0 offen       // 000000007BA0: E07C1000 800110DA
	v_add_u32_e32 v218, s62, v218                              // 000000007BA8: 69B5B43E
	v_accvgpr_read_b32 v8, a36                                 // 000000007BAC: D3D84008 18000124
	v_accvgpr_read_b32 v9, a37                                 // 000000007BB4: D3D84009 18000125
	v_accvgpr_read_b32 v10, a38                                // 000000007BBC: D3D8400A 18000126
	v_accvgpr_read_b32 v11, a39                                // 000000007BC4: D3D8400B 18000127
	v_accvgpr_read_b32 v12, a44                                // 000000007BCC: D3D8400C 1800012C
	v_accvgpr_read_b32 v13, a45                                // 000000007BD4: D3D8400D 1800012D
	v_accvgpr_read_b32 v14, a46                                // 000000007BDC: D3D8400E 1800012E
	v_accvgpr_read_b32 v15, a47                                // 000000007BE4: D3D8400F 1800012F
	v_cvt_pk_bf16_f32 v16, v8, v9                              // 000000007BEC: D2680010 00021308
	v_cvt_pk_bf16_f32 v17, v10, v11                            // 000000007BF4: D2680011 0002170A
	v_cvt_pk_bf16_f32 v18, v12, v13                            // 000000007BFC: D2680012 00021B0C
	v_cvt_pk_bf16_f32 v19, v14, v15                            // 000000007C04: D2680013 00021F0E
	s_nop 1                                                    // 000000007C0C: BF800001
	v_permlane16_swap_b32_e32 v16, v18                         // 000000007C10: 7E20B312
	s_nop 1                                                    // 000000007C14: BF800001
	v_permlane16_swap_b32_e32 v17, v19                         // 000000007C18: 7E22B313
	s_nop 1                                                    // 000000007C1C: BF800001
	buffer_store_dwordx4 v[16:19], v218, s[4:7], 0 offen       // 000000007C20: E07C1000 800110DA
	v_add_u32_e32 v218, s62, v218                              // 000000007C28: 69B5B43E
	v_accvgpr_read_b32 v8, a80                                 // 000000007C2C: D3D84008 18000150
	v_accvgpr_read_b32 v9, a81                                 // 000000007C34: D3D84009 18000151
	v_accvgpr_read_b32 v10, a82                                // 000000007C3C: D3D8400A 18000152
	v_accvgpr_read_b32 v11, a83                                // 000000007C44: D3D8400B 18000153
	v_accvgpr_read_b32 v12, a88                                // 000000007C4C: D3D8400C 18000158
	v_accvgpr_read_b32 v13, a89                                // 000000007C54: D3D8400D 18000159
	v_accvgpr_read_b32 v14, a90                                // 000000007C5C: D3D8400E 1800015A
	v_accvgpr_read_b32 v15, a91                                // 000000007C64: D3D8400F 1800015B
	v_cvt_pk_bf16_f32 v16, v8, v9                              // 000000007C6C: D2680010 00021308
	v_cvt_pk_bf16_f32 v17, v10, v11                            // 000000007C74: D2680011 0002170A
	v_cvt_pk_bf16_f32 v18, v12, v13                            // 000000007C7C: D2680012 00021B0C
	v_cvt_pk_bf16_f32 v19, v14, v15                            // 000000007C84: D2680013 00021F0E
	s_nop 1                                                    // 000000007C8C: BF800001
	v_permlane16_swap_b32_e32 v16, v18                         // 000000007C90: 7E20B312
	s_nop 1                                                    // 000000007C94: BF800001
	v_permlane16_swap_b32_e32 v17, v19                         // 000000007C98: 7E22B313
	s_nop 1                                                    // 000000007C9C: BF800001
	buffer_store_dwordx4 v[16:19], v218, s[4:7], 0 offen       // 000000007CA0: E07C1000 800110DA
	v_add_u32_e32 v218, s62, v218                              // 000000007CA8: 69B5B43E
	v_accvgpr_read_b32 v8, a84                                 // 000000007CAC: D3D84008 18000154
	v_accvgpr_read_b32 v9, a85                                 // 000000007CB4: D3D84009 18000155
	v_accvgpr_read_b32 v10, a86                                // 000000007CBC: D3D8400A 18000156
	v_accvgpr_read_b32 v11, a87                                // 000000007CC4: D3D8400B 18000157
	v_accvgpr_read_b32 v12, a92                                // 000000007CCC: D3D8400C 1800015C
	v_accvgpr_read_b32 v13, a93                                // 000000007CD4: D3D8400D 1800015D
	v_accvgpr_read_b32 v14, a94                                // 000000007CDC: D3D8400E 1800015E
	v_accvgpr_read_b32 v15, a95                                // 000000007CE4: D3D8400F 1800015F
	v_cvt_pk_bf16_f32 v16, v8, v9                              // 000000007CEC: D2680010 00021308
	v_cvt_pk_bf16_f32 v17, v10, v11                            // 000000007CF4: D2680011 0002170A
	v_cvt_pk_bf16_f32 v18, v12, v13                            // 000000007CFC: D2680012 00021B0C
	v_cvt_pk_bf16_f32 v19, v14, v15                            // 000000007D04: D2680013 00021F0E
	s_nop 1                                                    // 000000007D0C: BF800001
	v_permlane16_swap_b32_e32 v16, v18                         // 000000007D10: 7E20B312
	s_nop 1                                                    // 000000007D14: BF800001
	v_permlane16_swap_b32_e32 v17, v19                         // 000000007D18: 7E22B313
	s_nop 1                                                    // 000000007D1C: BF800001
	buffer_store_dwordx4 v[16:19], v218, s[4:7], 0 offen       // 000000007D20: E07C1000 800110DA
	v_add_u32_e32 v218, s62, v218                              // 000000007D28: 69B5B43E
	v_accvgpr_read_b32 v8, a128                                // 000000007D2C: D3D84008 18000180
	v_accvgpr_read_b32 v9, a129                                // 000000007D34: D3D84009 18000181
	v_accvgpr_read_b32 v10, a130                               // 000000007D3C: D3D8400A 18000182
	v_accvgpr_read_b32 v11, a131                               // 000000007D44: D3D8400B 18000183
	v_accvgpr_read_b32 v12, a136                               // 000000007D4C: D3D8400C 18000188
	v_accvgpr_read_b32 v13, a137                               // 000000007D54: D3D8400D 18000189
	v_accvgpr_read_b32 v14, a138                               // 000000007D5C: D3D8400E 1800018A
	v_accvgpr_read_b32 v15, a139                               // 000000007D64: D3D8400F 1800018B
	v_cvt_pk_bf16_f32 v16, v8, v9                              // 000000007D6C: D2680010 00021308
	v_cvt_pk_bf16_f32 v17, v10, v11                            // 000000007D74: D2680011 0002170A
	v_cvt_pk_bf16_f32 v18, v12, v13                            // 000000007D7C: D2680012 00021B0C
	v_cvt_pk_bf16_f32 v19, v14, v15                            // 000000007D84: D2680013 00021F0E
	s_nop 1                                                    // 000000007D8C: BF800001
	v_permlane16_swap_b32_e32 v16, v18                         // 000000007D90: 7E20B312
	s_nop 1                                                    // 000000007D94: BF800001
	v_permlane16_swap_b32_e32 v17, v19                         // 000000007D98: 7E22B313
	s_nop 1                                                    // 000000007D9C: BF800001
	buffer_store_dwordx4 v[16:19], v218, s[4:7], 0 offen       // 000000007DA0: E07C1000 800110DA
	v_add_u32_e32 v218, s62, v218                              // 000000007DA8: 69B5B43E
	v_accvgpr_read_b32 v8, a132                                // 000000007DAC: D3D84008 18000184
	v_accvgpr_read_b32 v9, a133                                // 000000007DB4: D3D84009 18000185
	v_accvgpr_read_b32 v10, a134                               // 000000007DBC: D3D8400A 18000186
	v_accvgpr_read_b32 v11, a135                               // 000000007DC4: D3D8400B 18000187
	v_accvgpr_read_b32 v12, a140                               // 000000007DCC: D3D8400C 1800018C
	v_accvgpr_read_b32 v13, a141                               // 000000007DD4: D3D8400D 1800018D
	v_accvgpr_read_b32 v14, a142                               // 000000007DDC: D3D8400E 1800018E
	v_accvgpr_read_b32 v15, a143                               // 000000007DE4: D3D8400F 1800018F
	v_cvt_pk_bf16_f32 v16, v8, v9                              // 000000007DEC: D2680010 00021308
	v_cvt_pk_bf16_f32 v17, v10, v11                            // 000000007DF4: D2680011 0002170A
	v_cvt_pk_bf16_f32 v18, v12, v13                            // 000000007DFC: D2680012 00021B0C
	v_cvt_pk_bf16_f32 v19, v14, v15                            // 000000007E04: D2680013 00021F0E
	s_nop 1                                                    // 000000007E0C: BF800001
	v_permlane16_swap_b32_e32 v16, v18                         // 000000007E10: 7E20B312
	s_nop 1                                                    // 000000007E14: BF800001
	v_permlane16_swap_b32_e32 v17, v19                         // 000000007E18: 7E22B313
	s_nop 1                                                    // 000000007E1C: BF800001
	buffer_store_dwordx4 v[16:19], v218, s[4:7], 0 offen       // 000000007E20: E07C1000 800110DA
	v_add_u32_e32 v218, s62, v218                              // 000000007E28: 69B5B43E
	v_accvgpr_read_b32 v8, a176                                // 000000007E2C: D3D84008 180001B0
	v_accvgpr_read_b32 v9, a177                                // 000000007E34: D3D84009 180001B1
	v_accvgpr_read_b32 v10, a178                               // 000000007E3C: D3D8400A 180001B2
	v_accvgpr_read_b32 v11, a179                               // 000000007E44: D3D8400B 180001B3
	v_accvgpr_read_b32 v12, a184                               // 000000007E4C: D3D8400C 180001B8
	v_accvgpr_read_b32 v13, a185                               // 000000007E54: D3D8400D 180001B9
	v_accvgpr_read_b32 v14, a186                               // 000000007E5C: D3D8400E 180001BA
	v_accvgpr_read_b32 v15, a187                               // 000000007E64: D3D8400F 180001BB
	v_cvt_pk_bf16_f32 v16, v8, v9                              // 000000007E6C: D2680010 00021308
	v_cvt_pk_bf16_f32 v17, v10, v11                            // 000000007E74: D2680011 0002170A
	v_cvt_pk_bf16_f32 v18, v12, v13                            // 000000007E7C: D2680012 00021B0C
	v_cvt_pk_bf16_f32 v19, v14, v15                            // 000000007E84: D2680013 00021F0E
	s_nop 1                                                    // 000000007E8C: BF800001
	v_permlane16_swap_b32_e32 v16, v18                         // 000000007E90: 7E20B312
	s_nop 1                                                    // 000000007E94: BF800001
	v_permlane16_swap_b32_e32 v17, v19                         // 000000007E98: 7E22B313
	s_nop 1                                                    // 000000007E9C: BF800001
	buffer_store_dwordx4 v[16:19], v218, s[4:7], 0 offen       // 000000007EA0: E07C1000 800110DA
	v_add_u32_e32 v218, s62, v218                              // 000000007EA8: 69B5B43E
	v_accvgpr_read_b32 v8, a180                                // 000000007EAC: D3D84008 180001B4
	v_accvgpr_read_b32 v9, a181                                // 000000007EB4: D3D84009 180001B5
	v_accvgpr_read_b32 v10, a182                               // 000000007EBC: D3D8400A 180001B6
	v_accvgpr_read_b32 v11, a183                               // 000000007EC4: D3D8400B 180001B7
	v_accvgpr_read_b32 v12, a188                               // 000000007ECC: D3D8400C 180001BC
	v_accvgpr_read_b32 v13, a189                               // 000000007ED4: D3D8400D 180001BD
	v_accvgpr_read_b32 v14, a190                               // 000000007EDC: D3D8400E 180001BE
	v_accvgpr_read_b32 v15, a191                               // 000000007EE4: D3D8400F 180001BF
	v_cvt_pk_bf16_f32 v16, v8, v9                              // 000000007EEC: D2680010 00021308
	v_cvt_pk_bf16_f32 v17, v10, v11                            // 000000007EF4: D2680011 0002170A
	v_cvt_pk_bf16_f32 v18, v12, v13                            // 000000007EFC: D2680012 00021B0C
	v_cvt_pk_bf16_f32 v19, v14, v15                            // 000000007F04: D2680013 00021F0E
	s_nop 1                                                    // 000000007F0C: BF800001
	v_permlane16_swap_b32_e32 v16, v18                         // 000000007F10: 7E20B312
	s_nop 1                                                    // 000000007F14: BF800001
	v_permlane16_swap_b32_e32 v17, v19                         // 000000007F18: 7E22B313
	s_nop 1                                                    // 000000007F1C: BF800001
	buffer_store_dwordx4 v[16:19], v218, s[4:7], 0 offen       // 000000007F20: E07C1000 800110DA
	v_add_u32_e32 v218, s62, v218                              // 000000007F28: 69B5B43E
	v_accvgpr_read_b32 v8, a224                                // 000000007F2C: D3D84008 180001E0
	v_accvgpr_read_b32 v9, a225                                // 000000007F34: D3D84009 180001E1
	v_accvgpr_read_b32 v10, a226                               // 000000007F3C: D3D8400A 180001E2
	v_accvgpr_read_b32 v11, a227                               // 000000007F44: D3D8400B 180001E3
	v_accvgpr_read_b32 v12, a232                               // 000000007F4C: D3D8400C 180001E8
	v_accvgpr_read_b32 v13, a233                               // 000000007F54: D3D8400D 180001E9
	v_accvgpr_read_b32 v14, a234                               // 000000007F5C: D3D8400E 180001EA
	v_accvgpr_read_b32 v15, a235                               // 000000007F64: D3D8400F 180001EB
	v_cvt_pk_bf16_f32 v16, v8, v9                              // 000000007F6C: D2680010 00021308
	v_cvt_pk_bf16_f32 v17, v10, v11                            // 000000007F74: D2680011 0002170A
	v_cvt_pk_bf16_f32 v18, v12, v13                            // 000000007F7C: D2680012 00021B0C
	v_cvt_pk_bf16_f32 v19, v14, v15                            // 000000007F84: D2680013 00021F0E
	s_nop 1                                                    // 000000007F8C: BF800001
	v_permlane16_swap_b32_e32 v16, v18                         // 000000007F90: 7E20B312
	s_nop 1                                                    // 000000007F94: BF800001
	v_permlane16_swap_b32_e32 v17, v19                         // 000000007F98: 7E22B313
	s_nop 1                                                    // 000000007F9C: BF800001
	buffer_store_dwordx4 v[16:19], v218, s[4:7], 0 offen       // 000000007FA0: E07C1000 800110DA
	v_add_u32_e32 v218, s62, v218                              // 000000007FA8: 69B5B43E
	v_accvgpr_read_b32 v8, a228                                // 000000007FAC: D3D84008 180001E4
	v_accvgpr_read_b32 v9, a229                                // 000000007FB4: D3D84009 180001E5
	v_accvgpr_read_b32 v10, a230                               // 000000007FBC: D3D8400A 180001E6
	v_accvgpr_read_b32 v11, a231                               // 000000007FC4: D3D8400B 180001E7
	v_accvgpr_read_b32 v12, a236                               // 000000007FCC: D3D8400C 180001EC
	v_accvgpr_read_b32 v13, a237                               // 000000007FD4: D3D8400D 180001ED
	v_accvgpr_read_b32 v14, a238                               // 000000007FDC: D3D8400E 180001EE
	v_accvgpr_read_b32 v15, a239                               // 000000007FE4: D3D8400F 180001EF
	v_cvt_pk_bf16_f32 v16, v8, v9                              // 000000007FEC: D2680010 00021308
	v_cvt_pk_bf16_f32 v17, v10, v11                            // 000000007FF4: D2680011 0002170A
	v_cvt_pk_bf16_f32 v18, v12, v13                            // 000000007FFC: D2680012 00021B0C
	v_cvt_pk_bf16_f32 v19, v14, v15                            // 000000008004: D2680013 00021F0E
	s_nop 1                                                    // 00000000800C: BF800001
	v_permlane16_swap_b32_e32 v16, v18                         // 000000008010: 7E20B312
	s_nop 1                                                    // 000000008014: BF800001
	v_permlane16_swap_b32_e32 v17, v19                         // 000000008018: 7E22B313
	s_nop 1                                                    // 00000000801C: BF800001
	buffer_store_dwordx4 v[16:19], v218, s[4:7], 0 offen       // 000000008020: E07C1000 800110DA
	v_add_u32_e32 v218, s62, v218                              // 000000008028: 69B5B43E

000000000000802c <label_150B>:
	s_waitcnt vmcnt(0) expcnt(0) lgkmcnt(0)                    // 00000000802C: BF8C0000
	s_endpgm                                                   // 000000008030: BF810000
